;; amdgpu-corpus repo=zjin-lcf/HeCBench kind=compiled arch=gfx906 opt=O3
	.amdgcn_target "amdgcn-amd-amdhsa--gfx906"
	.amdhsa_code_object_version 6
	.text
	.protected	_Z16computeMinMaxLv1Pf  ; -- Begin function _Z16computeMinMaxLv1Pf
	.globl	_Z16computeMinMaxLv1Pf
	.p2align	8
	.type	_Z16computeMinMaxLv1Pf,@function
_Z16computeMinMaxLv1Pf:                 ; @_Z16computeMinMaxLv1Pf
; %bb.0:
	v_mad_u64_u32 v[2:3], s[0:1], s6, 15, v[0:1]
	s_mul_i32 s0, s8, 63
	s_add_i32 s1, s0, 0xfffffe00
	v_add_u32_e32 v2, 0xfffffe00, v2
	v_cvt_f32_i32_e32 v2, v2
	v_cvt_f32_i32_e32 v3, s1
	s_load_dwordx2 s[2:3], s[4:5], 0x0
	s_mov_b32 s1, 0
	v_mul_f32_e32 v5, 0x3b000000, v2
	v_mul_f32_e32 v6, 0x3b000000, v3
	v_mul_f32_e32 v2, 0x41800000, v5
	v_mul_f32_e32 v3, v6, v2
	v_fma_f32 v4, -v6, v3, 1.0
	v_mul_f32_e32 v3, v5, v5
	v_fma_f32 v5, v6, v6, v3
	v_fmac_f32_e32 v5, v6, v6
	v_fmac_f32_e32 v4, -4.0, v5
	v_mov_b32_e32 v5, v4
.LBB0_1:                                ; =>This Inner Loop Header: Depth=1
	s_add_i32 s4, s0, s1
	s_add_i32 s5, s4, 0xfffffe01
	v_cvt_f32_i32_e32 v6, s5
	s_add_i32 s5, s4, 0xfffffe02
	s_add_i32 s1, s1, 9
	v_mul_f32_e32 v6, 0x3b000000, v6
	v_mul_f32_e32 v7, v2, v6
	v_fma_f32 v8, v6, v6, v3
	v_fma_f32 v7, -v6, v7, 1.0
	v_fmac_f32_e32 v8, v6, v6
	v_cvt_f32_i32_e32 v6, s5
	v_fmac_f32_e32 v7, -4.0, v8
	v_cmp_lt_f32_e32 vcc, v7, v4
	v_cndmask_b32_e32 v4, v4, v7, vcc
	v_cmp_gt_f32_e32 vcc, v7, v5
	v_mul_f32_e32 v6, 0x3b000000, v6
	v_cndmask_b32_e32 v5, v5, v7, vcc
	v_mul_f32_e32 v7, v2, v6
	v_fma_f32 v8, v6, v6, v3
	s_add_i32 s5, s4, 0xfffffe03
	v_fma_f32 v7, -v6, v7, 1.0
	v_fmac_f32_e32 v8, v6, v6
	v_cvt_f32_i32_e32 v6, s5
	v_fmac_f32_e32 v7, -4.0, v8
	v_cmp_lt_f32_e32 vcc, v7, v4
	v_cndmask_b32_e32 v4, v4, v7, vcc
	v_cmp_gt_f32_e32 vcc, v7, v5
	v_mul_f32_e32 v6, 0x3b000000, v6
	v_cndmask_b32_e32 v5, v5, v7, vcc
	v_mul_f32_e32 v7, v2, v6
	v_fma_f32 v8, v6, v6, v3
	s_add_i32 s5, s4, 0xfffffe04
	;; [unrolled: 12-line block ×6, first 2 shown]
	v_fma_f32 v7, -v6, v7, 1.0
	v_fmac_f32_e32 v8, v6, v6
	v_cvt_f32_i32_e32 v6, s5
	v_fmac_f32_e32 v7, -4.0, v8
	v_cmp_lt_f32_e32 vcc, v7, v4
	v_cndmask_b32_e32 v4, v4, v7, vcc
	v_cmp_gt_f32_e32 vcc, v7, v5
	v_mul_f32_e32 v6, 0x3b000000, v6
	v_cndmask_b32_e32 v5, v5, v7, vcc
	v_mul_f32_e32 v7, v2, v6
	v_fma_f32 v8, v6, v6, v3
	s_addk_i32 s4, 0xfe09
	v_fma_f32 v7, -v6, v7, 1.0
	v_fmac_f32_e32 v8, v6, v6
	v_cvt_f32_i32_e32 v6, s4
	v_fmac_f32_e32 v7, -4.0, v8
	v_cmp_lt_f32_e32 vcc, v7, v4
	v_cndmask_b32_e32 v4, v4, v7, vcc
	v_cmp_gt_f32_e32 vcc, v7, v5
	v_mul_f32_e32 v6, 0x3b000000, v6
	v_cndmask_b32_e32 v5, v5, v7, vcc
	v_mul_f32_e32 v7, v2, v6
	v_fma_f32 v8, v6, v6, v3
	v_fma_f32 v7, -v6, v7, 1.0
	v_fmac_f32_e32 v8, v6, v6
	v_fmac_f32_e32 v7, -4.0, v8
	v_cmp_lt_f32_e32 vcc, v7, v4
	v_cndmask_b32_e32 v4, v4, v7, vcc
	v_cmp_gt_f32_e32 vcc, v7, v5
	v_cndmask_b32_e32 v5, v5, v7, vcc
	s_cmp_eq_u32 s1, 63
	s_cbranch_scc0 .LBB0_1
; %bb.2:
	v_mbcnt_lo_u32_b32 v2, -1, 0
	v_mbcnt_hi_u32_b32 v7, -1, v2
	v_and_b32_e32 v8, 63, v7
	v_cmp_gt_u32_e32 vcc, 48, v8
	v_cndmask_b32_e64 v2, 0, 16, vcc
	v_add_lshl_u32 v2, v2, v7, 2
	ds_bpermute_b32 v3, v2, v4
	ds_bpermute_b32 v2, v2, v5
	v_lshl_add_u32 v1, v1, 4, v0
	v_and_b32_e32 v0, 31, v1
	s_waitcnt lgkmcnt(0)
	v_cmp_gt_f32_e32 vcc, v4, v3
	v_cndmask_b32_e32 v3, v4, v3, vcc
	v_cmp_gt_u32_e32 vcc, 56, v8
	v_cndmask_b32_e64 v4, 0, 8, vcc
	v_add_lshl_u32 v4, v4, v7, 2
	ds_bpermute_b32 v6, v4, v3
	v_cmp_lt_f32_e32 vcc, v5, v2
	v_cndmask_b32_e32 v5, v5, v2, vcc
	ds_bpermute_b32 v4, v4, v5
	s_waitcnt lgkmcnt(1)
	v_cmp_gt_f32_e32 vcc, v3, v6
	v_cndmask_b32_e32 v3, v3, v6, vcc
	v_cmp_gt_u32_e32 vcc, 60, v8
	v_cndmask_b32_e64 v2, 0, 4, vcc
	v_add_lshl_u32 v2, v2, v7, 2
	ds_bpermute_b32 v6, v2, v3
	s_waitcnt lgkmcnt(1)
	v_cmp_lt_f32_e32 vcc, v5, v4
	v_cndmask_b32_e32 v4, v5, v4, vcc
	ds_bpermute_b32 v5, v2, v4
	s_waitcnt lgkmcnt(1)
	v_cmp_gt_f32_e32 vcc, v3, v6
	v_cndmask_b32_e32 v6, v3, v6, vcc
	v_cmp_gt_u32_e32 vcc, 62, v8
	v_cndmask_b32_e64 v3, 0, 2, vcc
	v_add_lshl_u32 v3, v3, v7, 2
	s_waitcnt lgkmcnt(0)
	v_cmp_lt_f32_e32 vcc, v4, v5
	ds_bpermute_b32 v9, v3, v6
	v_cndmask_b32_e32 v4, v4, v5, vcc
	ds_bpermute_b32 v10, v3, v4
	s_waitcnt lgkmcnt(1)
	v_cmp_gt_f32_e32 vcc, v6, v9
	v_cndmask_b32_e32 v5, v6, v9, vcc
	s_waitcnt lgkmcnt(0)
	v_cmp_lt_f32_e32 vcc, v4, v10
	v_cndmask_b32_e32 v6, v4, v10, vcc
	v_cmp_ne_u32_e32 vcc, 63, v8
	v_addc_co_u32_e32 v4, vcc, 0, v7, vcc
	v_lshlrev_b32_e32 v4, 2, v4
	ds_bpermute_b32 v7, v4, v5
	ds_bpermute_b32 v8, v4, v6
	v_cmp_eq_u32_e32 vcc, 0, v0
	s_and_saveexec_b64 s[4:5], vcc
	s_cbranch_execz .LBB0_4
; %bb.3:
	s_waitcnt lgkmcnt(0)
	v_cmp_lt_f32_e64 s[0:1], v6, v8
	v_cndmask_b32_e64 v6, v6, v8, s[0:1]
	v_cmp_gt_f32_e64 s[0:1], v5, v7
	v_cndmask_b32_e64 v5, v5, v7, s[0:1]
	v_lshrrev_b32_e32 v7, 3, v1
	ds_write2_b32 v7, v5, v6 offset1:8
.LBB0_4:
	s_or_b64 exec, exec, s[4:5]
	v_cmp_gt_u32_e64 s[0:1], 32, v1
	s_waitcnt lgkmcnt(0)
	s_barrier
	s_and_saveexec_b64 s[4:5], s[0:1]
	s_cbranch_execz .LBB0_7
; %bb.5:
	v_lshlrev_b32_e32 v0, 2, v0
	ds_read2_b32 v[0:1], v0 offset1:8
	s_waitcnt lgkmcnt(0)
	ds_bpermute_b32 v5, v2, v0
	ds_bpermute_b32 v2, v2, v1
	s_waitcnt lgkmcnt(1)
	v_cmp_gt_f32_e64 s[0:1], v0, v5
	v_cndmask_b32_e64 v0, v0, v5, s[0:1]
	s_waitcnt lgkmcnt(0)
	v_cmp_lt_f32_e64 s[0:1], v1, v2
	ds_bpermute_b32 v5, v3, v0
	v_cndmask_b32_e64 v1, v1, v2, s[0:1]
	ds_bpermute_b32 v2, v3, v1
	s_waitcnt lgkmcnt(1)
	v_cmp_gt_f32_e64 s[0:1], v0, v5
	v_cndmask_b32_e64 v0, v0, v5, s[0:1]
	s_waitcnt lgkmcnt(0)
	v_cmp_lt_f32_e64 s[0:1], v1, v2
	v_cndmask_b32_e64 v2, v1, v2, s[0:1]
	ds_bpermute_b32 v1, v4, v0
	ds_bpermute_b32 v3, v4, v2
	s_and_b64 exec, exec, vcc
	s_cbranch_execz .LBB0_7
; %bb.6:
	s_mul_i32 s0, s8, 0x44
	s_add_i32 s0, s0, s7
	s_mulk_i32 s0, 0x44
	s_add_i32 s0, s0, s6
	s_lshl_b32 s0, s0, 1
	s_mov_b32 s1, 0
	s_waitcnt lgkmcnt(0)
	v_cmp_lt_f32_e32 vcc, v2, v3
	s_lshl_b64 s[0:1], s[0:1], 2
	v_cndmask_b32_e32 v2, v2, v3, vcc
	v_cmp_gt_f32_e32 vcc, v0, v1
	s_add_u32 s0, s2, s0
	v_cndmask_b32_e32 v1, v0, v1, vcc
	s_addc_u32 s1, s3, s1
	v_mov_b32_e32 v0, 0
	global_store_dwordx2 v0, v[1:2], s[0:1]
.LBB0_7:
	s_endpgm
	.section	.rodata,"a",@progbits
	.p2align	6, 0x0
	.amdhsa_kernel _Z16computeMinMaxLv1Pf
		.amdhsa_group_segment_fixed_size 256
		.amdhsa_private_segment_fixed_size 0
		.amdhsa_kernarg_size 8
		.amdhsa_user_sgpr_count 6
		.amdhsa_user_sgpr_private_segment_buffer 1
		.amdhsa_user_sgpr_dispatch_ptr 0
		.amdhsa_user_sgpr_queue_ptr 0
		.amdhsa_user_sgpr_kernarg_segment_ptr 1
		.amdhsa_user_sgpr_dispatch_id 0
		.amdhsa_user_sgpr_flat_scratch_init 0
		.amdhsa_user_sgpr_private_segment_size 0
		.amdhsa_uses_dynamic_stack 0
		.amdhsa_system_sgpr_private_segment_wavefront_offset 0
		.amdhsa_system_sgpr_workgroup_id_x 1
		.amdhsa_system_sgpr_workgroup_id_y 1
		.amdhsa_system_sgpr_workgroup_id_z 1
		.amdhsa_system_sgpr_workgroup_info 0
		.amdhsa_system_vgpr_workitem_id 1
		.amdhsa_next_free_vgpr 11
		.amdhsa_next_free_sgpr 9
		.amdhsa_reserve_vcc 1
		.amdhsa_reserve_flat_scratch 0
		.amdhsa_float_round_mode_32 0
		.amdhsa_float_round_mode_16_64 0
		.amdhsa_float_denorm_mode_32 3
		.amdhsa_float_denorm_mode_16_64 3
		.amdhsa_dx10_clamp 1
		.amdhsa_ieee_mode 1
		.amdhsa_fp16_overflow 0
		.amdhsa_exception_fp_ieee_invalid_op 0
		.amdhsa_exception_fp_denorm_src 0
		.amdhsa_exception_fp_ieee_div_zero 0
		.amdhsa_exception_fp_ieee_overflow 0
		.amdhsa_exception_fp_ieee_underflow 0
		.amdhsa_exception_fp_ieee_inexact 0
		.amdhsa_exception_int_div_zero 0
	.end_amdhsa_kernel
	.text
.Lfunc_end0:
	.size	_Z16computeMinMaxLv1Pf, .Lfunc_end0-_Z16computeMinMaxLv1Pf
                                        ; -- End function
	.set _Z16computeMinMaxLv1Pf.num_vgpr, 11
	.set _Z16computeMinMaxLv1Pf.num_agpr, 0
	.set _Z16computeMinMaxLv1Pf.numbered_sgpr, 9
	.set _Z16computeMinMaxLv1Pf.num_named_barrier, 0
	.set _Z16computeMinMaxLv1Pf.private_seg_size, 0
	.set _Z16computeMinMaxLv1Pf.uses_vcc, 1
	.set _Z16computeMinMaxLv1Pf.uses_flat_scratch, 0
	.set _Z16computeMinMaxLv1Pf.has_dyn_sized_stack, 0
	.set _Z16computeMinMaxLv1Pf.has_recursion, 0
	.set _Z16computeMinMaxLv1Pf.has_indirect_call, 0
	.section	.AMDGPU.csdata,"",@progbits
; Kernel info:
; codeLenInByte = 1308
; TotalNumSgprs: 13
; NumVgprs: 11
; ScratchSize: 0
; MemoryBound: 0
; FloatMode: 240
; IeeeMode: 1
; LDSByteSize: 256 bytes/workgroup (compile time only)
; SGPRBlocks: 1
; VGPRBlocks: 2
; NumSGPRsForWavesPerEU: 13
; NumVGPRsForWavesPerEU: 11
; Occupancy: 10
; WaveLimiterHint : 0
; COMPUTE_PGM_RSRC2:SCRATCH_EN: 0
; COMPUTE_PGM_RSRC2:USER_SGPR: 6
; COMPUTE_PGM_RSRC2:TRAP_HANDLER: 0
; COMPUTE_PGM_RSRC2:TGID_X_EN: 1
; COMPUTE_PGM_RSRC2:TGID_Y_EN: 1
; COMPUTE_PGM_RSRC2:TGID_Z_EN: 1
; COMPUTE_PGM_RSRC2:TIDIG_COMP_CNT: 1
	.text
	.protected	_Z10compactLv1fPKfPjS1_ ; -- Begin function _Z10compactLv1fPKfPjS1_
	.globl	_Z10compactLv1fPKfPjS1_
	.p2align	8
	.type	_Z10compactLv1fPKfPjS1_,@function
_Z10compactLv1fPKfPjS1_:                ; @_Z10compactLv1fPKfPjS1_
; %bb.0:
	s_load_dwordx2 s[0:1], s[4:5], 0x8
	v_lshl_add_u32 v3, s6, 7, v0
	v_lshlrev_b32_e32 v1, 1, v3
	v_mov_b32_e32 v2, 0
	v_lshlrev_b64 v[1:2], 2, v[1:2]
	s_load_dword s6, s[4:5], 0x0
	s_waitcnt lgkmcnt(0)
	v_mov_b32_e32 v4, s1
	v_add_co_u32_e32 v1, vcc, s0, v1
	v_addc_co_u32_e32 v2, vcc, v4, v2, vcc
	global_load_dword v4, v[1:2], off
	s_waitcnt vmcnt(0)
	v_cmp_nge_f32_e64 s[0:1], s6, v4
	v_cmp_ge_f32_e32 vcc, s6, v4
	s_and_saveexec_b64 s[2:3], vcc
	s_cbranch_execz .LBB1_2
; %bb.1:
	global_load_dword v1, v[1:2], off offset:4
	s_andn2_b64 s[0:1], s[0:1], exec
	s_waitcnt vmcnt(0)
	v_cmp_nle_f32_e32 vcc, s6, v1
	s_and_b64 s[6:7], vcc, exec
	s_or_b64 s[0:1], s[0:1], s[6:7]
.LBB1_2:
	s_or_b64 exec, exec, s[2:3]
	v_mov_b32_e32 v1, 1
	s_mov_b64 s[8:9], 0
	s_and_saveexec_b64 s[2:3], s[0:1]
; %bb.3:
	s_mov_b64 s[8:9], exec
	v_mov_b32_e32 v1, 0
; %bb.4:
	s_or_b64 exec, exec, s[2:3]
	v_mbcnt_lo_u32_b32 v2, -1, 0
	v_mbcnt_hi_u32_b32 v6, -1, v2
	v_and_b32_e32 v7, 64, v6
	v_add_u32_e32 v2, -1, v6
	v_cmp_lt_i32_e32 vcc, v2, v7
	v_cndmask_b32_e32 v2, v2, v6, vcc
	v_lshlrev_b32_e32 v2, 2, v2
	ds_bpermute_b32 v5, v2, v1
	v_and_b32_e32 v4, 31, v0
	v_cmp_eq_u32_e32 vcc, 0, v4
	s_waitcnt lgkmcnt(0)
	v_cndmask_b32_e64 v5, v5, 0, vcc
	v_add_u32_e32 v1, v5, v1
	v_add_u32_e32 v5, -2, v6
	v_cmp_lt_i32_e64 s[0:1], v5, v7
	v_cndmask_b32_e64 v5, v5, v6, s[0:1]
	v_lshlrev_b32_e32 v5, 2, v5
	ds_bpermute_b32 v8, v5, v1
	v_cmp_gt_u32_e64 s[0:1], 2, v4
	s_waitcnt lgkmcnt(0)
	v_cndmask_b32_e64 v8, v8, 0, s[0:1]
	v_add_u32_e32 v1, v8, v1
	v_add_u32_e32 v8, -4, v6
	v_cmp_lt_i32_e64 s[2:3], v8, v7
	v_cndmask_b32_e64 v8, v8, v6, s[2:3]
	v_lshlrev_b32_e32 v8, 2, v8
	ds_bpermute_b32 v8, v8, v1
	v_cmp_lt_u32_e64 s[2:3], 3, v4
	s_waitcnt lgkmcnt(0)
	v_cndmask_b32_e64 v8, 0, v8, s[2:3]
	v_add_u32_e32 v1, v8, v1
	v_add_u32_e32 v8, -8, v6
	v_cmp_lt_i32_e64 s[2:3], v8, v7
	v_cndmask_b32_e64 v8, v8, v6, s[2:3]
	v_lshlrev_b32_e32 v8, 2, v8
	ds_bpermute_b32 v8, v8, v1
	v_cmp_lt_u32_e64 s[2:3], 7, v4
	;; [unrolled: 9-line block ×3, first 2 shown]
	v_lshrrev_b32_e32 v6, 5, v0
	s_waitcnt lgkmcnt(0)
	v_cndmask_b32_e64 v7, 0, v7, s[2:3]
	v_add_u32_e32 v1, v7, v1
	v_cmp_eq_u32_e64 s[2:3], 31, v4
	s_and_saveexec_b64 s[6:7], s[2:3]
; %bb.5:
	v_lshlrev_b32_e32 v7, 2, v6
	ds_write_b32 v7, v1
; %bb.6:
	s_or_b64 exec, exec, s[6:7]
	v_cmp_lt_u32_e64 s[2:3], 31, v0
	v_cmp_gt_u32_e64 s[6:7], 32, v0
	s_waitcnt lgkmcnt(0)
	s_barrier
	s_and_saveexec_b64 s[10:11], s[6:7]
	s_cbranch_execz .LBB1_8
; %bb.7:
	v_lshlrev_b32_e32 v4, 2, v4
	ds_read_b32 v7, v4
	s_waitcnt lgkmcnt(0)
	ds_bpermute_b32 v2, v2, v7
	s_waitcnt lgkmcnt(0)
	v_cndmask_b32_e64 v2, v2, 0, vcc
	v_add_u32_e32 v2, v2, v7
	ds_bpermute_b32 v5, v5, v2
	s_waitcnt lgkmcnt(0)
	v_cndmask_b32_e64 v5, v5, 0, s[0:1]
	v_add_u32_e32 v2, v5, v2
	ds_write_b32 v4, v2
.LBB1_8:
	s_or_b64 exec, exec, s[10:11]
	s_waitcnt lgkmcnt(0)
	s_barrier
	s_and_saveexec_b64 s[0:1], s[2:3]
	s_cbranch_execz .LBB1_10
; %bb.9:
	v_lshl_add_u32 v2, v6, 2, -4
	ds_read_b32 v2, v2
	s_waitcnt lgkmcnt(0)
	v_add_u32_e32 v1, v2, v1
.LBB1_10:
	s_or_b64 exec, exec, s[0:1]
	s_load_dwordx2 s[2:3], s[4:5], 0x10
	s_movk_i32 s0, 0x7f
	v_cmp_eq_u32_e32 vcc, s0, v0
	v_cmp_ne_u32_e64 s[0:1], 0, v1
	s_mov_b32 s10, 0
	s_and_b64 s[6:7], vcc, s[0:1]
	s_and_saveexec_b64 s[0:1], s[6:7]
	s_cbranch_execz .LBB1_16
; %bb.11:
	s_load_dwordx2 s[4:5], s[4:5], 0x18
	s_mov_b64 s[6:7], exec
                                        ; implicit-def: $vgpr0
.LBB1_12:                               ; =>This Inner Loop Header: Depth=1
	s_ff1_i32_b64 s11, s[6:7]
	s_mov_b32 m0, s11
	v_readlane_b32 s14, v1, s11
	s_lshl_b64 s[12:13], 1, s11
	v_writelane_b32 v0, s10, m0
	s_add_i32 s10, s10, s14
	s_andn2_b64 s[6:7], s[6:7], s[12:13]
	s_cmp_lg_u64 s[6:7], 0
	s_cbranch_scc1 .LBB1_12
; %bb.13:
	v_mbcnt_lo_u32_b32 v2, exec_lo, 0
	v_mbcnt_hi_u32_b32 v2, exec_hi, v2
	v_cmp_eq_u32_e32 vcc, 0, v2
                                        ; implicit-def: $vgpr2
	s_and_saveexec_b64 s[6:7], vcc
	s_xor_b64 s[6:7], exec, s[6:7]
	s_cbranch_execz .LBB1_15
; %bb.14:
	v_mov_b32_e32 v2, 0
	v_mov_b32_e32 v4, s10
	s_waitcnt lgkmcnt(0)
	global_atomic_add v2, v2, v4, s[4:5] glc
.LBB1_15:
	s_or_b64 exec, exec, s[6:7]
	s_waitcnt vmcnt(0) lgkmcnt(0)
	v_readfirstlane_b32 s4, v2
	v_add_u32_e32 v0, s4, v0
	v_mov_b32_e32 v2, 0
	ds_write_b32 v2, v0 offset:124
.LBB1_16:
	s_or_b64 exec, exec, s[0:1]
	s_xor_b64 s[0:1], s[8:9], -1
	s_waitcnt lgkmcnt(0)
	s_barrier
	s_and_saveexec_b64 s[4:5], s[0:1]
	s_cbranch_execz .LBB1_18
; %bb.17:
	v_mov_b32_e32 v2, 0
	ds_read_b32 v0, v2 offset:124
	v_mov_b32_e32 v4, s3
	s_waitcnt lgkmcnt(0)
	v_add3_u32 v1, v1, v0, -1
	v_lshlrev_b64 v[0:1], 2, v[1:2]
	v_add_co_u32_e32 v0, vcc, s2, v0
	v_addc_co_u32_e32 v1, vcc, v4, v1, vcc
	global_store_dword v[0:1], v3, off
.LBB1_18:
	s_endpgm
	.section	.rodata,"a",@progbits
	.p2align	6, 0x0
	.amdhsa_kernel _Z10compactLv1fPKfPjS1_
		.amdhsa_group_segment_fixed_size 128
		.amdhsa_private_segment_fixed_size 0
		.amdhsa_kernarg_size 32
		.amdhsa_user_sgpr_count 6
		.amdhsa_user_sgpr_private_segment_buffer 1
		.amdhsa_user_sgpr_dispatch_ptr 0
		.amdhsa_user_sgpr_queue_ptr 0
		.amdhsa_user_sgpr_kernarg_segment_ptr 1
		.amdhsa_user_sgpr_dispatch_id 0
		.amdhsa_user_sgpr_flat_scratch_init 0
		.amdhsa_user_sgpr_private_segment_size 0
		.amdhsa_uses_dynamic_stack 0
		.amdhsa_system_sgpr_private_segment_wavefront_offset 0
		.amdhsa_system_sgpr_workgroup_id_x 1
		.amdhsa_system_sgpr_workgroup_id_y 0
		.amdhsa_system_sgpr_workgroup_id_z 0
		.amdhsa_system_sgpr_workgroup_info 0
		.amdhsa_system_vgpr_workitem_id 0
		.amdhsa_next_free_vgpr 9
		.amdhsa_next_free_sgpr 15
		.amdhsa_reserve_vcc 1
		.amdhsa_reserve_flat_scratch 0
		.amdhsa_float_round_mode_32 0
		.amdhsa_float_round_mode_16_64 0
		.amdhsa_float_denorm_mode_32 3
		.amdhsa_float_denorm_mode_16_64 3
		.amdhsa_dx10_clamp 1
		.amdhsa_ieee_mode 1
		.amdhsa_fp16_overflow 0
		.amdhsa_exception_fp_ieee_invalid_op 0
		.amdhsa_exception_fp_denorm_src 0
		.amdhsa_exception_fp_ieee_div_zero 0
		.amdhsa_exception_fp_ieee_overflow 0
		.amdhsa_exception_fp_ieee_underflow 0
		.amdhsa_exception_fp_ieee_inexact 0
		.amdhsa_exception_int_div_zero 0
	.end_amdhsa_kernel
	.text
.Lfunc_end1:
	.size	_Z10compactLv1fPKfPjS1_, .Lfunc_end1-_Z10compactLv1fPKfPjS1_
                                        ; -- End function
	.set _Z10compactLv1fPKfPjS1_.num_vgpr, 9
	.set _Z10compactLv1fPKfPjS1_.num_agpr, 0
	.set _Z10compactLv1fPKfPjS1_.numbered_sgpr, 15
	.set _Z10compactLv1fPKfPjS1_.num_named_barrier, 0
	.set _Z10compactLv1fPKfPjS1_.private_seg_size, 0
	.set _Z10compactLv1fPKfPjS1_.uses_vcc, 1
	.set _Z10compactLv1fPKfPjS1_.uses_flat_scratch, 0
	.set _Z10compactLv1fPKfPjS1_.has_dyn_sized_stack, 0
	.set _Z10compactLv1fPKfPjS1_.has_recursion, 0
	.set _Z10compactLv1fPKfPjS1_.has_indirect_call, 0
	.section	.AMDGPU.csdata,"",@progbits
; Kernel info:
; codeLenInByte = 876
; TotalNumSgprs: 19
; NumVgprs: 9
; ScratchSize: 0
; MemoryBound: 0
; FloatMode: 240
; IeeeMode: 1
; LDSByteSize: 128 bytes/workgroup (compile time only)
; SGPRBlocks: 2
; VGPRBlocks: 2
; NumSGPRsForWavesPerEU: 19
; NumVGPRsForWavesPerEU: 9
; Occupancy: 10
; WaveLimiterHint : 0
; COMPUTE_PGM_RSRC2:SCRATCH_EN: 0
; COMPUTE_PGM_RSRC2:USER_SGPR: 6
; COMPUTE_PGM_RSRC2:TRAP_HANDLER: 0
; COMPUTE_PGM_RSRC2:TGID_X_EN: 1
; COMPUTE_PGM_RSRC2:TGID_Y_EN: 0
; COMPUTE_PGM_RSRC2:TGID_Z_EN: 0
; COMPUTE_PGM_RSRC2:TIDIG_COMP_CNT: 0
	.text
	.protected	_Z16computeMinMaxLv2PKjPf ; -- Begin function _Z16computeMinMaxLv2PKjPf
	.globl	_Z16computeMinMaxLv2PKjPf
	.p2align	8
	.type	_Z16computeMinMaxLv2PKjPf,@function
_Z16computeMinMaxLv2PKjPf:              ; @_Z16computeMinMaxLv2PKjPf
; %bb.0:
	s_load_dwordx4 s[0:3], s[4:5], 0x0
	s_mov_b32 s7, 0
	s_lshl_b64 s[4:5], s[6:7], 2
	v_mov_b32_e32 v2, 5
	v_mul_u32_u24_e32 v3, 0x3334, v1
	s_waitcnt lgkmcnt(0)
	s_add_u32 s0, s0, s4
	s_addc_u32 s1, s1, s5
	s_load_dword s4, s[0:1], 0x0
	v_mul_lo_u16_sdwa v2, v3, v2 dst_sel:DWORD dst_unused:UNUSED_PAD src0_sel:WORD_1 src1_sel:DWORD
	v_sub_u16_e32 v2, v1, v2
	v_mul_lo_u16_e32 v2, 3, v2
	v_and_b32_e32 v3, 3, v0
	s_waitcnt lgkmcnt(0)
	s_mul_hi_u32 s0, s4, 0xf0f0f0f1
	s_lshr_b32 s0, s0, 6
	s_mulk_i32 s0, 0x44
	v_add_u32_e32 v2, v2, v3
	s_sub_i32 s0, s4, s0
	v_or_b32_e32 v2, 0xfffffe00, v2
	v_mad_u64_u32 v[2:3], s[0:1], s0, 15, v[2:3]
	s_mul_hi_u32 s0, s4, 0xe2c4a689
	s_lshr_b32 s8, s0, 12
	s_mul_i32 s8, s8, 63
	v_cvt_f32_i32_e32 v2, v2
	s_add_i32 s0, s8, 0xfffffe00
	v_cvt_f32_i32_e32 v3, s0
	s_mul_i32 s0, s6, 0xe1
	v_mul_f32_e32 v2, 0x3b000000, v2
	v_mul_f32_e32 v4, 0x41800000, v2
	;; [unrolled: 1-line block ×4, first 2 shown]
	v_fma_f32 v9, -v3, v5, 1.0
	v_mul_f32_e32 v5, v2, v2
	v_fma_f32 v2, v3, v3, v5
	v_fmac_f32_e32 v2, v3, v3
	v_fmac_f32_e32 v9, -4.0, v2
	v_mbcnt_lo_u32_b32 v2, -1, 0
	v_mbcnt_hi_u32_b32 v2, -1, v2
	v_and_b32_e32 v3, 63, v2
	v_add_lshl_u32 v1, s0, v1, 1
	v_cmp_gt_u32_e64 s[0:1], 56, v3
	v_cmp_eq_u32_e32 vcc, 0, v0
	v_cndmask_b32_e64 v0, 0, 8, s[0:1]
	v_cmp_gt_u32_e64 s[0:1], 60, v3
	v_cndmask_b32_e64 v6, 0, 4, s[0:1]
	v_cmp_gt_u32_e64 s[0:1], 62, v3
	v_cndmask_b32_e64 v7, 0, 2, s[0:1]
	v_cmp_ne_u32_e64 s[0:1], 63, v3
	v_add_lshl_u32 v0, v0, v2, 2
	v_add_lshl_u32 v6, v6, v2, 2
	;; [unrolled: 1-line block ×3, first 2 shown]
	v_addc_co_u32_e64 v2, s[0:1], 0, v2, s[0:1]
	v_lshlrev_b32_e32 v8, 2, v2
	v_mov_b32_e32 v3, 0
	s_branch .LBB2_2
.LBB2_1:                                ;   in Loop: Header=BB2_2 Depth=1
	s_or_b64 exec, exec, s[4:5]
	s_add_i32 s7, s7, 7
	s_cmp_eq_u32 s7, 63
	s_cbranch_scc1 .LBB2_4
.LBB2_2:                                ; =>This Inner Loop Header: Depth=1
	s_add_i32 s4, s8, s7
	s_add_i32 s0, s4, 0xfffffe01
	v_cvt_f32_i32_e32 v2, s0
	s_add_i32 s0, s4, 0xfffffe02
	v_mul_f32_e32 v2, 0x3b000000, v2
	s_waitcnt lgkmcnt(1)
	v_mul_f32_e32 v10, v4, v2
	v_fma_f32 v11, v2, v2, v5
	v_fma_f32 v10, -v2, v10, 1.0
	v_fmac_f32_e32 v11, v2, v2
	v_cvt_f32_i32_e32 v2, s0
	v_fmac_f32_e32 v10, -4.0, v11
	v_cmp_lt_f32_e64 s[0:1], v10, v9
	v_cndmask_b32_e64 v11, v9, v10, s[0:1]
	v_cmp_gt_f32_e64 s[0:1], v10, v9
	v_mul_f32_e32 v2, 0x3b000000, v2
	v_cndmask_b32_e64 v9, v9, v10, s[0:1]
	v_mul_f32_e32 v10, v4, v2
	s_waitcnt lgkmcnt(0)
	v_fma_f32 v12, v2, v2, v5
	s_add_i32 s0, s4, 0xfffffe03
	v_fma_f32 v10, -v2, v10, 1.0
	v_fmac_f32_e32 v12, v2, v2
	v_cvt_f32_i32_e32 v2, s0
	v_fmac_f32_e32 v10, -4.0, v12
	v_cmp_lt_f32_e64 s[0:1], v10, v11
	v_cndmask_b32_e64 v11, v11, v10, s[0:1]
	v_cmp_gt_f32_e64 s[0:1], v10, v9
	v_mul_f32_e32 v2, 0x3b000000, v2
	v_cndmask_b32_e64 v9, v9, v10, s[0:1]
	v_mul_f32_e32 v10, v4, v2
	v_fma_f32 v12, v2, v2, v5
	s_add_i32 s0, s4, 0xfffffe04
	v_fma_f32 v10, -v2, v10, 1.0
	v_fmac_f32_e32 v12, v2, v2
	v_cvt_f32_i32_e32 v2, s0
	v_fmac_f32_e32 v10, -4.0, v12
	v_cmp_lt_f32_e64 s[0:1], v10, v11
	v_cndmask_b32_e64 v11, v11, v10, s[0:1]
	v_cmp_gt_f32_e64 s[0:1], v10, v9
	v_mul_f32_e32 v2, 0x3b000000, v2
	v_cndmask_b32_e64 v9, v9, v10, s[0:1]
	v_mul_f32_e32 v10, v4, v2
	;; [unrolled: 12-line block ×4, first 2 shown]
	v_fma_f32 v12, v2, v2, v5
	s_addk_i32 s4, 0xfe07
	v_fma_f32 v10, -v2, v10, 1.0
	v_fmac_f32_e32 v12, v2, v2
	v_cvt_f32_i32_e32 v2, s4
	v_fmac_f32_e32 v10, -4.0, v12
	v_cmp_lt_f32_e64 s[0:1], v10, v11
	v_cndmask_b32_e64 v11, v11, v10, s[0:1]
	v_cmp_gt_f32_e64 s[0:1], v10, v9
	v_mul_f32_e32 v2, 0x3b000000, v2
	v_cndmask_b32_e64 v10, v9, v10, s[0:1]
	v_mul_f32_e32 v9, v4, v2
	v_fma_f32 v12, v2, v2, v5
	v_fma_f32 v9, -v2, v9, 1.0
	v_fmac_f32_e32 v12, v2, v2
	v_fmac_f32_e32 v9, -4.0, v12
	v_cmp_lt_f32_e64 s[0:1], v9, v11
	v_cndmask_b32_e64 v2, v11, v9, s[0:1]
	v_cmp_gt_f32_e64 s[0:1], v9, v10
	ds_bpermute_b32 v11, v0, v2
	v_cndmask_b32_e64 v10, v10, v9, s[0:1]
	ds_bpermute_b32 v12, v0, v10
	s_waitcnt lgkmcnt(1)
	v_cmp_gt_f32_e64 s[0:1], v2, v11
	v_cndmask_b32_e64 v2, v2, v11, s[0:1]
	s_waitcnt lgkmcnt(0)
	v_cmp_lt_f32_e64 s[0:1], v10, v12
	ds_bpermute_b32 v11, v6, v2
	v_cndmask_b32_e64 v10, v10, v12, s[0:1]
	ds_bpermute_b32 v12, v6, v10
	s_waitcnt lgkmcnt(1)
	v_cmp_gt_f32_e64 s[0:1], v2, v11
	v_cndmask_b32_e64 v2, v2, v11, s[0:1]
	s_waitcnt lgkmcnt(0)
	v_cmp_lt_f32_e64 s[0:1], v10, v12
	;; [unrolled: 8-line block ×3, first 2 shown]
	v_cndmask_b32_e64 v11, v10, v12, s[0:1]
	ds_bpermute_b32 v10, v8, v2
	ds_bpermute_b32 v12, v8, v11
	s_and_saveexec_b64 s[4:5], vcc
	s_cbranch_execz .LBB2_1
; %bb.3:                                ;   in Loop: Header=BB2_2 Depth=1
	s_waitcnt lgkmcnt(0)
	v_cmp_lt_f32_e64 s[0:1], v11, v12
	v_cndmask_b32_e64 v12, v11, v12, s[0:1]
	v_cmp_gt_f32_e64 s[0:1], v2, v10
	v_cndmask_b32_e64 v13, v2, v10, s[0:1]
	v_add_u32_e32 v2, 1, v1
	v_lshlrev_b64 v[10:11], 2, v[2:3]
	v_mov_b32_e32 v2, s3
	v_add_co_u32_e64 v10, s[0:1], s2, v10
	v_addc_co_u32_e64 v11, s[0:1], v2, v11, s[0:1]
	v_mov_b32_e32 v2, v3
	v_add_u32_e32 v14, 50, v1
	v_lshlrev_b64 v[1:2], 2, v[1:2]
	v_mov_b32_e32 v15, s3
	v_add_co_u32_e64 v1, s[0:1], s2, v1
	v_addc_co_u32_e64 v2, s[0:1], v15, v2, s[0:1]
	global_store_dword v[1:2], v13, off
	global_store_dword v[10:11], v12, off
	v_mov_b32_e32 v1, v14
	s_branch .LBB2_1
.LBB2_4:
	s_endpgm
	.section	.rodata,"a",@progbits
	.p2align	6, 0x0
	.amdhsa_kernel _Z16computeMinMaxLv2PKjPf
		.amdhsa_group_segment_fixed_size 0
		.amdhsa_private_segment_fixed_size 0
		.amdhsa_kernarg_size 16
		.amdhsa_user_sgpr_count 6
		.amdhsa_user_sgpr_private_segment_buffer 1
		.amdhsa_user_sgpr_dispatch_ptr 0
		.amdhsa_user_sgpr_queue_ptr 0
		.amdhsa_user_sgpr_kernarg_segment_ptr 1
		.amdhsa_user_sgpr_dispatch_id 0
		.amdhsa_user_sgpr_flat_scratch_init 0
		.amdhsa_user_sgpr_private_segment_size 0
		.amdhsa_uses_dynamic_stack 0
		.amdhsa_system_sgpr_private_segment_wavefront_offset 0
		.amdhsa_system_sgpr_workgroup_id_x 1
		.amdhsa_system_sgpr_workgroup_id_y 0
		.amdhsa_system_sgpr_workgroup_id_z 0
		.amdhsa_system_sgpr_workgroup_info 0
		.amdhsa_system_vgpr_workitem_id 1
		.amdhsa_next_free_vgpr 16
		.amdhsa_next_free_sgpr 9
		.amdhsa_reserve_vcc 1
		.amdhsa_reserve_flat_scratch 0
		.amdhsa_float_round_mode_32 0
		.amdhsa_float_round_mode_16_64 0
		.amdhsa_float_denorm_mode_32 3
		.amdhsa_float_denorm_mode_16_64 3
		.amdhsa_dx10_clamp 1
		.amdhsa_ieee_mode 1
		.amdhsa_fp16_overflow 0
		.amdhsa_exception_fp_ieee_invalid_op 0
		.amdhsa_exception_fp_denorm_src 0
		.amdhsa_exception_fp_ieee_div_zero 0
		.amdhsa_exception_fp_ieee_overflow 0
		.amdhsa_exception_fp_ieee_underflow 0
		.amdhsa_exception_fp_ieee_inexact 0
		.amdhsa_exception_int_div_zero 0
	.end_amdhsa_kernel
	.text
.Lfunc_end2:
	.size	_Z16computeMinMaxLv2PKjPf, .Lfunc_end2-_Z16computeMinMaxLv2PKjPf
                                        ; -- End function
	.set _Z16computeMinMaxLv2PKjPf.num_vgpr, 16
	.set _Z16computeMinMaxLv2PKjPf.num_agpr, 0
	.set _Z16computeMinMaxLv2PKjPf.numbered_sgpr, 9
	.set _Z16computeMinMaxLv2PKjPf.num_named_barrier, 0
	.set _Z16computeMinMaxLv2PKjPf.private_seg_size, 0
	.set _Z16computeMinMaxLv2PKjPf.uses_vcc, 1
	.set _Z16computeMinMaxLv2PKjPf.uses_flat_scratch, 0
	.set _Z16computeMinMaxLv2PKjPf.has_dyn_sized_stack, 0
	.set _Z16computeMinMaxLv2PKjPf.has_recursion, 0
	.set _Z16computeMinMaxLv2PKjPf.has_indirect_call, 0
	.section	.AMDGPU.csdata,"",@progbits
; Kernel info:
; codeLenInByte = 1248
; TotalNumSgprs: 13
; NumVgprs: 16
; ScratchSize: 0
; MemoryBound: 0
; FloatMode: 240
; IeeeMode: 1
; LDSByteSize: 0 bytes/workgroup (compile time only)
; SGPRBlocks: 1
; VGPRBlocks: 3
; NumSGPRsForWavesPerEU: 13
; NumVGPRsForWavesPerEU: 16
; Occupancy: 10
; WaveLimiterHint : 0
; COMPUTE_PGM_RSRC2:SCRATCH_EN: 0
; COMPUTE_PGM_RSRC2:USER_SGPR: 6
; COMPUTE_PGM_RSRC2:TRAP_HANDLER: 0
; COMPUTE_PGM_RSRC2:TGID_X_EN: 1
; COMPUTE_PGM_RSRC2:TGID_Y_EN: 0
; COMPUTE_PGM_RSRC2:TGID_Z_EN: 0
; COMPUTE_PGM_RSRC2:TIDIG_COMP_CNT: 1
	.text
	.protected	_Z10compactLv2fPKfPKjPjjS3_ ; -- Begin function _Z10compactLv2fPKfPKjPjjS3_
	.globl	_Z10compactLv2fPKfPKjPjjS3_
	.p2align	8
	.type	_Z10compactLv2fPKfPKjPjjS3_,@function
_Z10compactLv2fPKfPKjPjjS3_:            ; @_Z10compactLv2fPKfPKjPjjS3_
; %bb.0:
	v_lshl_or_b32 v4, s6, 10, v0
	s_mov_b32 s1, 0x91a2b3c5
	s_load_dword s0, s[4:5], 0x20
	v_mul_hi_u32 v1, v4, s1
	v_mov_b32_e32 v3, 0
	s_mov_b64 s[14:15], -1
	v_lshrrev_b32_e32 v1, 7, v1
	s_waitcnt lgkmcnt(0)
	v_cmp_gt_u32_e32 vcc, s0, v1
	s_and_saveexec_b64 s[0:1], vcc
	s_cbranch_execz .LBB3_6
; %bb.1:
	s_load_dwordx2 s[2:3], s[4:5], 0x8
	s_load_dword s8, s[4:5], 0x0
	v_lshlrev_b32_e32 v2, 1, v4
	v_mov_b32_e32 v3, 0
	v_lshlrev_b64 v[2:3], 2, v[2:3]
	s_waitcnt lgkmcnt(0)
	v_mov_b32_e32 v5, s3
	v_add_co_u32_e32 v2, vcc, s2, v2
	v_addc_co_u32_e32 v3, vcc, v5, v3, vcc
	global_load_dword v5, v[2:3], off
	s_waitcnt vmcnt(0)
	v_cmp_nge_f32_e64 s[2:3], s8, v5
	v_cmp_ge_f32_e32 vcc, s8, v5
	s_and_saveexec_b64 s[6:7], vcc
	s_cbranch_execz .LBB3_3
; %bb.2:
	global_load_dword v2, v[2:3], off offset:4
	s_andn2_b64 s[2:3], s[2:3], exec
	s_waitcnt vmcnt(0)
	v_cmp_nle_f32_e32 vcc, s8, v2
	s_and_b64 s[8:9], vcc, exec
	s_or_b64 s[2:3], s[2:3], s[8:9]
.LBB3_3:
	s_or_b64 exec, exec, s[6:7]
	s_mov_b64 s[6:7], 0
	v_mov_b32_e32 v3, 1
	s_and_saveexec_b64 s[8:9], s[2:3]
; %bb.4:
	s_mov_b64 s[6:7], exec
	v_mov_b32_e32 v3, 0
; %bb.5:
	s_or_b64 exec, exec, s[8:9]
	s_orn2_b64 s[14:15], s[6:7], exec
.LBB3_6:
	s_or_b64 exec, exec, s[0:1]
	v_mbcnt_lo_u32_b32 v2, -1, 0
	v_mbcnt_hi_u32_b32 v7, -1, v2
	v_and_b32_e32 v10, 64, v7
	v_add_u32_e32 v2, -1, v7
	v_cmp_lt_i32_e32 vcc, v2, v10
	v_cndmask_b32_e32 v2, v2, v7, vcc
	v_lshlrev_b32_e32 v2, 2, v2
	ds_bpermute_b32 v6, v2, v3
	v_and_b32_e32 v5, 31, v0
	v_cmp_eq_u32_e32 vcc, 0, v5
	v_cmp_eq_u32_e64 s[10:11], 31, v5
	s_waitcnt lgkmcnt(0)
	v_cndmask_b32_e64 v6, v6, 0, vcc
	v_add_u32_e32 v3, v6, v3
	v_add_u32_e32 v6, -2, v7
	v_cmp_lt_i32_e64 s[0:1], v6, v10
	v_cndmask_b32_e64 v6, v6, v7, s[0:1]
	v_lshlrev_b32_e32 v6, 2, v6
	ds_bpermute_b32 v8, v6, v3
	v_cmp_gt_u32_e64 s[0:1], 2, v5
	s_waitcnt lgkmcnt(0)
	v_cndmask_b32_e64 v8, v8, 0, s[0:1]
	v_add_u32_e32 v3, v8, v3
	v_add_u32_e32 v8, -4, v7
	v_cmp_lt_i32_e64 s[2:3], v8, v10
	v_cndmask_b32_e64 v8, v8, v7, s[2:3]
	v_lshlrev_b32_e32 v8, 2, v8
	ds_bpermute_b32 v9, v8, v3
	v_cmp_gt_u32_e64 s[2:3], 4, v5
	s_waitcnt lgkmcnt(0)
	v_cndmask_b32_e64 v9, v9, 0, s[2:3]
	v_add_u32_e32 v3, v9, v3
	v_add_u32_e32 v9, -8, v7
	v_cmp_lt_i32_e64 s[6:7], v9, v10
	v_cndmask_b32_e64 v9, v9, v7, s[6:7]
	v_lshlrev_b32_e32 v9, 2, v9
	ds_bpermute_b32 v11, v9, v3
	v_cmp_gt_u32_e64 s[6:7], 8, v5
	s_waitcnt lgkmcnt(0)
	v_cndmask_b32_e64 v11, v11, 0, s[6:7]
	v_add_u32_e32 v3, v11, v3
	v_add_u32_e32 v11, -16, v7
	v_cmp_lt_i32_e64 s[8:9], v11, v10
	v_cndmask_b32_e64 v7, v11, v7, s[8:9]
	v_lshlrev_b32_e32 v10, 2, v7
	ds_bpermute_b32 v11, v10, v3
	v_cmp_gt_u32_e64 s[8:9], 16, v5
	v_lshrrev_b32_e32 v7, 5, v0
	s_waitcnt lgkmcnt(0)
	v_cndmask_b32_e64 v11, v11, 0, s[8:9]
	v_add_u32_e32 v3, v11, v3
	s_and_saveexec_b64 s[12:13], s[10:11]
; %bb.7:
	v_lshlrev_b32_e32 v11, 2, v7
	ds_write_b32 v11, v3
; %bb.8:
	s_or_b64 exec, exec, s[12:13]
	v_cmp_lt_u32_e64 s[10:11], 31, v0
	v_cmp_gt_u32_e64 s[12:13], 32, v0
	s_waitcnt lgkmcnt(0)
	s_barrier
	s_and_saveexec_b64 s[16:17], s[12:13]
	s_cbranch_execz .LBB3_10
; %bb.9:
	v_lshlrev_b32_e32 v5, 2, v5
	ds_read_b32 v11, v5
	s_waitcnt lgkmcnt(0)
	ds_bpermute_b32 v2, v2, v11
	s_waitcnt lgkmcnt(0)
	v_cndmask_b32_e64 v2, v2, 0, vcc
	v_add_u32_e32 v2, v2, v11
	ds_bpermute_b32 v6, v6, v2
	s_waitcnt lgkmcnt(0)
	v_cndmask_b32_e64 v6, v6, 0, s[0:1]
	v_add_u32_e32 v2, v6, v2
	ds_bpermute_b32 v6, v8, v2
	s_waitcnt lgkmcnt(0)
	v_cndmask_b32_e64 v6, v6, 0, s[2:3]
	;; [unrolled: 4-line block ×4, first 2 shown]
	v_add_u32_e32 v2, v6, v2
	ds_write_b32 v5, v2
.LBB3_10:
	s_or_b64 exec, exec, s[16:17]
	s_waitcnt lgkmcnt(0)
	s_barrier
	s_and_saveexec_b64 s[0:1], s[10:11]
	s_cbranch_execz .LBB3_12
; %bb.11:
	v_lshl_add_u32 v2, v7, 2, -4
	ds_read_b32 v2, v2
	s_waitcnt lgkmcnt(0)
	v_add_u32_e32 v3, v2, v3
.LBB3_12:
	s_or_b64 exec, exec, s[0:1]
	s_load_dwordx4 s[0:3], s[4:5], 0x10
	s_movk_i32 s6, 0x3ff
	v_cmp_eq_u32_e32 vcc, s6, v0
	s_and_saveexec_b64 s[6:7], vcc
	s_cbranch_execz .LBB3_18
; %bb.13:
	s_load_dwordx2 s[4:5], s[4:5], 0x28
	s_mov_b64 s[8:9], exec
	s_mov_b32 s10, 0
                                        ; implicit-def: $vgpr0
.LBB3_14:                               ; =>This Inner Loop Header: Depth=1
	s_ff1_i32_b64 s11, s[8:9]
	s_mov_b32 m0, s11
	v_readlane_b32 s16, v3, s11
	s_lshl_b64 s[12:13], 1, s11
	v_writelane_b32 v0, s10, m0
	s_add_i32 s10, s10, s16
	s_andn2_b64 s[8:9], s[8:9], s[12:13]
	s_cmp_lg_u64 s[8:9], 0
	s_cbranch_scc1 .LBB3_14
; %bb.15:
	v_mbcnt_lo_u32_b32 v2, exec_lo, 0
	v_mbcnt_hi_u32_b32 v2, exec_hi, v2
	v_cmp_eq_u32_e32 vcc, 0, v2
                                        ; implicit-def: $vgpr2
	s_and_saveexec_b64 s[8:9], vcc
	s_xor_b64 s[8:9], exec, s[8:9]
	s_cbranch_execz .LBB3_17
; %bb.16:
	v_mov_b32_e32 v2, 0
	v_mov_b32_e32 v5, s10
	s_waitcnt lgkmcnt(0)
	global_atomic_add v2, v2, v5, s[4:5] glc
.LBB3_17:
	s_or_b64 exec, exec, s[8:9]
	s_waitcnt vmcnt(0) lgkmcnt(0)
	v_readfirstlane_b32 s4, v2
	v_add_u32_e32 v0, s4, v0
	v_mov_b32_e32 v2, 0
	ds_write_b32 v2, v0 offset:124
.LBB3_18:
	s_or_b64 exec, exec, s[6:7]
	s_xor_b64 s[4:5], s[14:15], -1
	s_waitcnt lgkmcnt(0)
	s_barrier
	s_and_saveexec_b64 s[6:7], s[4:5]
	s_cbranch_execz .LBB3_20
; %bb.19:
	v_mov_b32_e32 v2, 0
	v_lshlrev_b64 v[5:6], 2, v[1:2]
	v_mov_b32_e32 v0, s1
	v_add_co_u32_e32 v5, vcc, s0, v5
	v_addc_co_u32_e32 v6, vcc, v0, v6, vcc
	global_load_dword v5, v[5:6], off
	s_movk_i32 s0, 0xe1
	v_mul_lo_u32 v0, v1, s0
	ds_read_b32 v1, v2 offset:124
	s_movk_i32 s5, 0xcd
	s_mov_b32 s1, 0xf0f0f0f1
	v_sub_u32_e32 v4, v4, v0
	v_mul_lo_u16_sdwa v0, v4, s5 dst_sel:DWORD dst_unused:UNUSED_PAD src0_sel:BYTE_0 src1_sel:DWORD
	s_waitcnt lgkmcnt(0)
	v_add3_u32 v1, v3, v1, -1
	v_lshrrev_b16_e32 v9, 10, v0
	v_lshlrev_b64 v[0:1], 2, v[1:2]
	v_mul_lo_u16_e32 v8, 41, v4
	s_mov_b32 s6, 0x3c3c3c4
	v_mov_b32_e32 v6, 5
	s_mov_b32 s0, 0xe2c4a689
	v_lshrrev_b16_e32 v3, 10, v8
	v_mul_lo_u16_e32 v8, 52, v9
	v_mul_lo_u16_sdwa v6, v8, v6 dst_sel:DWORD dst_unused:UNUSED_PAD src0_sel:BYTE_1 src1_sel:DWORD
	s_movk_i32 s4, 0x44
	v_sub_u16_e32 v6, v9, v6
	v_mov_b32_e32 v7, s3
	v_add_co_u32_e32 v0, vcc, s2, v0
	v_addc_co_u32_e32 v1, vcc, v7, v1, vcc
	s_waitcnt vmcnt(0)
	v_mul_hi_u32 v2, v5, s1
	v_mul_hi_u32 v8, v5, s0
	v_lshrrev_b32_e32 v10, 6, v2
	v_mul_hi_u32 v2, v10, s6
	v_lshrrev_b32_e32 v8, 12, v8
	v_mad_u32_u24 v3, v8, 9, v3
	v_mul_lo_u16_e32 v8, 5, v9
	v_mul_u32_u24_e32 v2, 0x44, v2
	v_sub_u32_e32 v2, v10, v2
	v_mad_u64_u32 v[2:3], s[0:1], v3, s4, v[2:3]
	v_and_b32_e32 v3, 0xff, v6
	v_mul_lo_u32 v6, v10, s4
	v_mad_u64_u32 v[2:3], s[0:1], v2, 5, v[3:4]
	v_sub_u32_e32 v3, v5, v6
	v_mad_u64_u32 v[2:3], s[0:1], v2, s4, v[3:4]
	v_sub_u16_e32 v3, v4, v8
	v_and_b32_e32 v3, 0xff, v3
	v_mad_u64_u32 v[2:3], s[0:1], v2, 5, v[3:4]
	global_store_dword v[0:1], v2, off
.LBB3_20:
	s_endpgm
	.section	.rodata,"a",@progbits
	.p2align	6, 0x0
	.amdhsa_kernel _Z10compactLv2fPKfPKjPjjS3_
		.amdhsa_group_segment_fixed_size 128
		.amdhsa_private_segment_fixed_size 0
		.amdhsa_kernarg_size 48
		.amdhsa_user_sgpr_count 6
		.amdhsa_user_sgpr_private_segment_buffer 1
		.amdhsa_user_sgpr_dispatch_ptr 0
		.amdhsa_user_sgpr_queue_ptr 0
		.amdhsa_user_sgpr_kernarg_segment_ptr 1
		.amdhsa_user_sgpr_dispatch_id 0
		.amdhsa_user_sgpr_flat_scratch_init 0
		.amdhsa_user_sgpr_private_segment_size 0
		.amdhsa_uses_dynamic_stack 0
		.amdhsa_system_sgpr_private_segment_wavefront_offset 0
		.amdhsa_system_sgpr_workgroup_id_x 1
		.amdhsa_system_sgpr_workgroup_id_y 0
		.amdhsa_system_sgpr_workgroup_id_z 0
		.amdhsa_system_sgpr_workgroup_info 0
		.amdhsa_system_vgpr_workitem_id 0
		.amdhsa_next_free_vgpr 12
		.amdhsa_next_free_sgpr 18
		.amdhsa_reserve_vcc 1
		.amdhsa_reserve_flat_scratch 0
		.amdhsa_float_round_mode_32 0
		.amdhsa_float_round_mode_16_64 0
		.amdhsa_float_denorm_mode_32 3
		.amdhsa_float_denorm_mode_16_64 3
		.amdhsa_dx10_clamp 1
		.amdhsa_ieee_mode 1
		.amdhsa_fp16_overflow 0
		.amdhsa_exception_fp_ieee_invalid_op 0
		.amdhsa_exception_fp_denorm_src 0
		.amdhsa_exception_fp_ieee_div_zero 0
		.amdhsa_exception_fp_ieee_overflow 0
		.amdhsa_exception_fp_ieee_underflow 0
		.amdhsa_exception_fp_ieee_inexact 0
		.amdhsa_exception_int_div_zero 0
	.end_amdhsa_kernel
	.text
.Lfunc_end3:
	.size	_Z10compactLv2fPKfPKjPjjS3_, .Lfunc_end3-_Z10compactLv2fPKfPKjPjjS3_
                                        ; -- End function
	.set _Z10compactLv2fPKfPKjPjjS3_.num_vgpr, 12
	.set _Z10compactLv2fPKfPKjPjjS3_.num_agpr, 0
	.set _Z10compactLv2fPKfPKjPjjS3_.numbered_sgpr, 18
	.set _Z10compactLv2fPKfPKjPjjS3_.num_named_barrier, 0
	.set _Z10compactLv2fPKfPKjPjjS3_.private_seg_size, 0
	.set _Z10compactLv2fPKfPKjPjjS3_.uses_vcc, 1
	.set _Z10compactLv2fPKfPKjPjjS3_.uses_flat_scratch, 0
	.set _Z10compactLv2fPKfPKjPjjS3_.has_dyn_sized_stack, 0
	.set _Z10compactLv2fPKfPKjPjjS3_.has_recursion, 0
	.set _Z10compactLv2fPKfPKjPjjS3_.has_indirect_call, 0
	.section	.AMDGPU.csdata,"",@progbits
; Kernel info:
; codeLenInByte = 1236
; TotalNumSgprs: 22
; NumVgprs: 12
; ScratchSize: 0
; MemoryBound: 0
; FloatMode: 240
; IeeeMode: 1
; LDSByteSize: 128 bytes/workgroup (compile time only)
; SGPRBlocks: 2
; VGPRBlocks: 2
; NumSGPRsForWavesPerEU: 22
; NumVGPRsForWavesPerEU: 12
; Occupancy: 10
; WaveLimiterHint : 0
; COMPUTE_PGM_RSRC2:SCRATCH_EN: 0
; COMPUTE_PGM_RSRC2:USER_SGPR: 6
; COMPUTE_PGM_RSRC2:TRAP_HANDLER: 0
; COMPUTE_PGM_RSRC2:TGID_X_EN: 1
; COMPUTE_PGM_RSRC2:TGID_Y_EN: 0
; COMPUTE_PGM_RSRC2:TGID_Z_EN: 0
; COMPUTE_PGM_RSRC2:TIDIG_COMP_CNT: 0
	.text
	.protected	_Z19generatingTrianglesfPKjPKtPKiPK15HIP_vector_typeIhLj4EEPjS9_PyPfSB_SB_SB_ ; -- Begin function _Z19generatingTrianglesfPKjPKtPKiPK15HIP_vector_typeIhLj4EEPjS9_PyPfSB_SB_SB_
	.globl	_Z19generatingTrianglesfPKjPKtPKiPK15HIP_vector_typeIhLj4EEPjS9_PyPfSB_SB_SB_
	.p2align	8
	.type	_Z19generatingTrianglesfPKjPKtPKiPK15HIP_vector_typeIhLj4EEPjS9_PyPfSB_SB_SB_,@function
_Z19generatingTrianglesfPKjPKtPKiPK15HIP_vector_typeIhLj4EEPjS9_PyPfSB_SB_SB_: ; @_Z19generatingTrianglesfPKjPKtPKiPK15HIP_vector_typeIhLj4EEPjS9_PyPfSB_SB_SB_
; %bb.0:
	s_load_dwordx2 s[0:1], s[4:5], 0x8
	s_mov_b32 s7, 0
	s_lshl_b64 s[2:3], s[6:7], 2
	v_mov_b32_e32 v11, 7
	v_mul_u32_u24_e32 v13, 0x64, v2
	s_waitcnt lgkmcnt(0)
	s_add_u32 s0, s0, s2
	s_addc_u32 s1, s1, s3
	s_load_dword s0, s[0:1], 0x0
	v_cmp_eq_u32_e32 vcc, 3, v0
	s_waitcnt lgkmcnt(0)
	s_mul_hi_u32 s1, s0, 0xc0c0c0c1
	s_lshr_b32 s24, s1, 8
	s_mul_i32 s1, s24, 0x154
	s_mul_hi_u32 s2, s0, 0x9121b243
	s_sub_i32 s0, s0, s1
	v_mad_u64_u32 v[5:6], s[0:1], s0, 3, v[0:1]
	s_lshr_b32 s0, s2, 16
	v_mad_u64_u32 v[3:4], s[0:1], s0, 7, v[2:3]
	v_add_u32_e32 v4, 0xfffffe00, v5
	v_cvt_f32_i32_e32 v4, v4
	v_add_u32_e32 v6, 0xfffffe00, v3
	v_cvt_f32_i32_e32 v6, v6
	s_movk_i32 s0, 0x64
	v_mul_f32_e32 v4, 0x3b000000, v4
	v_mul_f32_e32 v7, 0x41800000, v4
	;; [unrolled: 1-line block ×5, first 2 shown]
	v_fma_f32 v8, -v10, v6, 1.0
	v_fma_f32 v6, v4, v4, v12
	v_fmac_f32_e32 v6, v10, v10
	v_fmac_f32_e32 v8, -4.0, v6
	v_mul_u32_u24_e32 v6, 20, v1
	v_mad_u32_u24 v14, v2, s0, v6
	v_lshl_add_u32 v9, v0, 2, v14
	ds_write_b32 v9, v8
	s_and_saveexec_b64 s[2:3], vcc
	s_cbranch_execz .LBB4_4
; %bb.1:
	v_add_u32_e32 v11, 0xfffffe01, v5
	v_cvt_f32_i32_e32 v11, v11
	v_cmp_eq_u32_e64 s[0:1], 3, v1
	v_mul_f32_e32 v11, 0x3b000000, v11
	v_mul_f32_e32 v15, 0xc1800000, v11
	v_fma_f32 v11, v11, v11, v12
	v_mul_f32_e32 v15, v10, v15
	v_add_f32_e32 v12, v12, v11
	v_fma_f32 v11, v10, v15, 1.0
	v_fmac_f32_e32 v11, -4.0, v12
	ds_write_b32 v14, v11 offset:16
	s_and_saveexec_b64 s[6:7], s[0:1]
; %bb.2:
	ds_write_b32 v13, v11 offset:96
; %bb.3:
	s_or_b64 exec, exec, s[6:7]
	v_mov_b32_e32 v11, 6
.LBB4_4:
	s_or_b64 exec, exec, s[2:3]
	v_mul_f32_e32 v12, v4, v4
	v_cmp_eq_u32_e64 s[0:1], 3, v1
	s_and_saveexec_b64 s[2:3], s[0:1]
	s_cbranch_execz .LBB4_8
; %bb.5:
	v_lshl_add_u32 v13, v0, 2, v13
	v_cmp_eq_u32_e64 s[0:1], 7, v2
	ds_write_b32 v13, v8 offset:80
	s_and_saveexec_b64 s[6:7], s[0:1]
	s_cbranch_execz .LBB4_7
; %bb.6:
	v_add_u32_e32 v13, 0xfffffe01, v3
	v_cvt_f32_i32_e32 v13, v13
	v_mul_f32_e32 v13, 0x3b000000, v13
	v_mul_f32_e32 v14, v13, v7
	v_fma_f32 v15, v13, v13, v12
	v_fma_f32 v14, -v13, v14, 1.0
	v_fmac_f32_e32 v15, v13, v13
	v_fmac_f32_e32 v14, -4.0, v15
	v_lshlrev_b32_e32 v13, 2, v0
	ds_write_b32 v13, v14 offset:880
.LBB4_7:
	s_or_b64 exec, exec, s[6:7]
	v_and_b32_e32 v11, 5, v11
.LBB4_8:
	s_or_b64 exec, exec, s[2:3]
	v_cmp_eq_u32_e64 s[0:1], 7, v2
	s_and_saveexec_b64 s[2:3], s[0:1]
	s_cbranch_execz .LBB4_12
; %bb.9:
	v_add_u32_e32 v13, 0xfffffe01, v3
	v_cvt_f32_i32_e32 v13, v13
	v_lshlrev_b32_e32 v14, 2, v0
	v_mul_f32_e32 v13, 0x3b000000, v13
	v_mul_f32_e32 v7, v13, v7
	v_fmac_f32_e32 v12, v13, v13
	v_fma_f32 v7, -v13, v7, 1.0
	v_fmac_f32_e32 v12, v13, v13
	v_fmac_f32_e32 v7, -4.0, v12
	v_mad_u32_u24 v12, v1, 20, v14
	ds_write_b32 v12, v7 offset:800
	s_and_saveexec_b64 s[0:1], vcc
	s_cbranch_execz .LBB4_11
; %bb.10:
	v_add_u32_e32 v7, 0xfffffe01, v5
	v_cvt_f32_i32_e32 v7, v7
	v_mul_f32_e32 v12, v13, v13
	v_mul_f32_e32 v7, 0x3b000000, v7
	;; [unrolled: 1-line block ×3, first 2 shown]
	v_fma_f32 v7, v7, v7, v12
	v_mul_f32_e32 v14, v13, v14
	v_fma_f32 v13, v13, v14, 1.0
	v_add_f32_e32 v7, v12, v7
	v_fmac_f32_e32 v13, -4.0, v7
	ds_write_b32 v6, v13 offset:816
.LBB4_11:
	s_or_b64 exec, exec, s[0:1]
	v_and_b32_e32 v11, 3, v11
.LBB4_12:
	s_or_b64 exec, exec, s[2:3]
	s_load_dword s25, s[4:5], 0x0
	s_waitcnt lgkmcnt(0)
	s_barrier
	ds_read2_b32 v[6:7], v9 offset1:1
	ds_read2_b32 v[12:13], v9 offset0:5 offset1:6
	ds_read2_b32 v[14:15], v9 offset0:25 offset1:26
	;; [unrolled: 1-line block ×3, first 2 shown]
	v_cmp_ne_u32_e64 s[0:1], 0, v11
	s_waitcnt lgkmcnt(3)
	v_cmp_gt_f32_e32 vcc, s25, v6
	v_cndmask_b32_e64 v6, 0, 1, vcc
	v_or_b32_e32 v18, 2, v6
	v_cmp_gt_f32_e32 vcc, s25, v7
	v_cndmask_b32_e32 v6, v6, v18, vcc
	v_or_b32_e32 v7, 4, v6
	s_waitcnt lgkmcnt(2)
	v_cmp_gt_f32_e32 vcc, s25, v13
	v_cndmask_b32_e32 v6, v6, v7, vcc
	v_or_b32_e32 v7, 8, v6
	v_cmp_gt_f32_e32 vcc, s25, v12
	v_cndmask_b32_e32 v6, v6, v7, vcc
	v_or_b32_e32 v7, 16, v6
	s_waitcnt lgkmcnt(1)
	v_cmp_gt_f32_e32 vcc, s25, v14
	v_cndmask_b32_e32 v6, v6, v7, vcc
	;; [unrolled: 7-line block ×3, first 2 shown]
	v_or_b32_e32 v7, 0x80, v6
	v_cmp_gt_f32_e32 vcc, s25, v16
	v_cndmask_b32_e32 v6, v6, v7, vcc
	v_mov_b32_e32 v7, 0
	v_cmp_eq_u32_e32 vcc, 0, v11
	s_and_saveexec_b64 s[2:3], s[0:1]
	s_cbranch_execz .LBB4_14
; %bb.13:
	s_load_dwordx2 s[0:1], s[4:5], 0x10
	v_mov_b32_e32 v7, 0
	v_lshlrev_b64 v[12:13], 1, v[6:7]
	s_waitcnt lgkmcnt(0)
	v_mov_b32_e32 v7, s1
	v_add_co_u32_e64 v12, s[0:1], s0, v12
	v_addc_co_u32_e64 v13, s[0:1], v7, v13, s[0:1]
	global_load_ushort v7, v[12:13], off
	s_waitcnt vmcnt(0)
	v_and_b32_e32 v7, 0xffff, v7
.LBB4_14:
	s_or_b64 exec, exec, s[2:3]
	v_mbcnt_lo_u32_b32 v15, -1, 0
	v_mbcnt_hi_u32_b32 v19, -1, v15
	v_and_b32_e32 v12, 7, v7
	v_cmp_eq_u32_e64 s[0:1], 7, v11
	v_and_b32_e32 v20, 64, v19
	v_add_u32_e32 v15, -1, v19
	v_cndmask_b32_e64 v12, 0, v12, s[0:1]
	v_cmp_lt_i32_e64 s[0:1], v15, v20
	v_cndmask_b32_e64 v15, v15, v19, s[0:1]
	v_lshlrev_b32_e32 v15, 2, v15
	v_lshlrev_b32_e32 v13, 13, v11
	ds_bpermute_b32 v16, v15, v12
	v_and_b32_e32 v11, v7, v13
	v_lshlrev_b32_e32 v13, 4, v2
	v_lshlrev_b32_e32 v14, 2, v1
	v_bcnt_u32_b32 v7, v11, 0
	v_add3_u32 v18, v14, v0, v13
	ds_bpermute_b32 v13, v15, v7
	v_and_b32_e32 v17, 31, v18
	v_cmp_eq_u32_e64 s[0:1], 0, v17
	s_waitcnt lgkmcnt(1)
	v_cndmask_b32_e64 v14, v16, 0, s[0:1]
	v_add_u32_e32 v16, -2, v19
	v_cmp_lt_i32_e64 s[2:3], v16, v20
	v_cndmask_b32_e64 v16, v16, v19, s[2:3]
	v_add_u32_e32 v14, v14, v12
	s_waitcnt lgkmcnt(0)
	v_cndmask_b32_e64 v13, v13, 0, s[0:1]
	v_lshlrev_b32_e32 v16, 2, v16
	ds_bpermute_b32 v21, v16, v14
	v_bcnt_u32_b32 v13, v11, v13
	ds_bpermute_b32 v22, v16, v13
	v_cmp_gt_u32_e64 s[2:3], 2, v17
	s_waitcnt lgkmcnt(1)
	v_cndmask_b32_e64 v21, v21, 0, s[2:3]
	v_add_u32_e32 v14, v21, v14
	s_waitcnt lgkmcnt(0)
	v_cndmask_b32_e64 v21, v22, 0, s[2:3]
	v_add_u32_e32 v22, -4, v19
	v_cmp_lt_i32_e64 s[6:7], v22, v20
	v_cndmask_b32_e64 v22, v22, v19, s[6:7]
	v_lshlrev_b32_e32 v22, 2, v22
	ds_bpermute_b32 v23, v22, v14
	v_add_u32_e32 v13, v21, v13
	ds_bpermute_b32 v21, v22, v13
	v_cmp_gt_u32_e64 s[6:7], 4, v17
	s_waitcnt lgkmcnt(1)
	v_cndmask_b32_e64 v22, v23, 0, s[6:7]
	v_add_u32_e32 v14, v22, v14
	v_add_u32_e32 v22, -8, v19
	s_waitcnt lgkmcnt(0)
	v_cndmask_b32_e64 v21, v21, 0, s[6:7]
	v_cmp_lt_i32_e64 s[6:7], v22, v20
	v_cndmask_b32_e64 v22, v22, v19, s[6:7]
	v_lshlrev_b32_e32 v22, 2, v22
	ds_bpermute_b32 v23, v22, v14
	v_add_u32_e32 v13, v21, v13
	ds_bpermute_b32 v21, v22, v13
	v_cmp_gt_u32_e64 s[6:7], 8, v17
	s_waitcnt lgkmcnt(1)
	v_cndmask_b32_e64 v22, v23, 0, s[6:7]
	v_add_u32_e32 v14, v22, v14
	v_add_u32_e32 v22, -16, v19
	s_waitcnt lgkmcnt(0)
	v_cndmask_b32_e64 v21, v21, 0, s[6:7]
	v_cmp_lt_i32_e64 s[6:7], v22, v20
	v_cndmask_b32_e64 v19, v22, v19, s[6:7]
	v_lshlrev_b32_e32 v19, 2, v19
	v_add_u32_e32 v13, v21, v13
	ds_bpermute_b32 v20, v19, v14
	ds_bpermute_b32 v19, v19, v13
	v_cmp_gt_u32_e64 s[6:7], 16, v17
	s_waitcnt lgkmcnt(1)
	v_cndmask_b32_e64 v20, v20, 0, s[6:7]
	s_waitcnt lgkmcnt(0)
	v_cndmask_b32_e64 v19, v19, 0, s[6:7]
	v_add_u32_e32 v13, v19, v13
	v_lshrrev_b32_e32 v19, 5, v18
	v_add_u32_e32 v14, v20, v14
	v_cmp_eq_u32_e64 s[6:7], 31, v17
	v_lshlrev_b32_e32 v19, 2, v19
	s_and_saveexec_b64 s[8:9], s[6:7]
; %bb.15:
	v_add_u32_e32 v20, 0x400, v19
	ds_write2_b32 v20, v13, v14 offset0:36 offset1:68
; %bb.16:
	s_or_b64 exec, exec, s[8:9]
	v_cmp_lt_u32_e64 s[6:7], 31, v18
	v_cmp_gt_u32_e64 s[8:9], 32, v18
	s_waitcnt lgkmcnt(0)
	s_barrier
	s_and_saveexec_b64 s[10:11], s[8:9]
	s_cbranch_execz .LBB4_18
; %bb.17:
	v_lshlrev_b32_e32 v17, 2, v17
	v_add_u32_e32 v20, 0x400, v17
	ds_read2_b32 v[17:18], v20 offset0:36 offset1:68
	s_waitcnt lgkmcnt(0)
	ds_bpermute_b32 v21, v15, v18
	ds_bpermute_b32 v15, v15, v17
	s_waitcnt lgkmcnt(1)
	v_cndmask_b32_e64 v21, v21, 0, s[0:1]
	s_waitcnt lgkmcnt(0)
	v_cndmask_b32_e64 v15, v15, 0, s[0:1]
	v_add_u32_e32 v18, v21, v18
	v_add_u32_e32 v15, v15, v17
	ds_bpermute_b32 v17, v16, v18
	ds_bpermute_b32 v16, v16, v15
	s_waitcnt lgkmcnt(1)
	v_cndmask_b32_e64 v17, v17, 0, s[2:3]
	s_waitcnt lgkmcnt(0)
	v_cndmask_b32_e64 v16, v16, 0, s[2:3]
	v_add_u32_e32 v17, v17, v18
	v_add_u32_e32 v15, v16, v15
	ds_write2_b32 v20, v15, v17 offset0:36 offset1:68
.LBB4_18:
	s_or_b64 exec, exec, s[10:11]
	s_waitcnt lgkmcnt(0)
	s_barrier
	s_and_saveexec_b64 s[0:1], s[6:7]
	s_cbranch_execz .LBB4_20
; %bb.19:
	v_add_u32_e32 v15, 0x400, v19
	ds_read2_b32 v[15:16], v15 offset0:35 offset1:67
	s_waitcnt lgkmcnt(0)
	v_add_u32_e32 v13, v15, v13
	v_add_u32_e32 v14, v16, v14
.LBB4_20:
	s_or_b64 exec, exec, s[0:1]
	s_load_dwordx2 s[6:7], s[4:5], 0x58
	s_load_dwordx8 s[8:15], s[4:5], 0x38
	s_load_dwordx4 s[0:3], s[4:5], 0x18
	s_and_saveexec_b64 s[20:21], vcc
	s_cbranch_execz .LBB4_30
; %bb.21:
	s_load_dwordx4 s[16:19], s[4:5], 0x28
	s_mov_b64 s[22:23], exec
	s_mov_b32 s26, 0
                                        ; implicit-def: $vgpr15
.LBB4_22:                               ; =>This Inner Loop Header: Depth=1
	s_ff1_i32_b64 s4, s[22:23]
	s_mov_b32 m0, s4
	v_readlane_b32 s27, v13, s4
	s_lshl_b64 s[4:5], 1, s4
	v_writelane_b32 v15, s26, m0
	s_add_i32 s26, s26, s27
	s_andn2_b64 s[22:23], s[22:23], s[4:5]
	s_cmp_lg_u64 s[22:23], 0
	s_cbranch_scc1 .LBB4_22
; %bb.23:
	v_mbcnt_lo_u32_b32 v16, exec_lo, 0
	v_mbcnt_hi_u32_b32 v16, exec_hi, v16
	s_mov_b32 s22, 0
	v_cmp_eq_u32_e32 vcc, 0, v16
                                        ; implicit-def: $vgpr16
	s_and_saveexec_b64 s[4:5], vcc
	s_xor_b64 s[4:5], exec, s[4:5]
	s_cbranch_execz .LBB4_25
; %bb.24:
	v_mov_b32_e32 v16, 0
	v_mov_b32_e32 v17, s26
	s_waitcnt lgkmcnt(0)
	global_atomic_add v16, v16, v17, s[16:17] glc
.LBB4_25:
	s_or_b64 exec, exec, s[4:5]
	s_waitcnt vmcnt(0) lgkmcnt(0)
	v_readfirstlane_b32 s16, v16
	s_mov_b64 s[4:5], exec
	v_add_u32_e32 v15, s16, v15
	v_mov_b32_e32 v16, 0
	ds_write_b32 v16, v15 offset:1292
                                        ; implicit-def: $vgpr15
.LBB4_26:                               ; =>This Inner Loop Header: Depth=1
	s_ff1_i32_b64 s16, s[4:5]
	s_mov_b32 m0, s16
	v_readlane_b32 s23, v14, s16
	s_lshl_b64 s[16:17], 1, s16
	v_writelane_b32 v15, s22, m0
	s_add_i32 s22, s22, s23
	s_andn2_b64 s[4:5], s[4:5], s[16:17]
	s_cmp_lg_u64 s[4:5], 0
	s_cbranch_scc1 .LBB4_26
; %bb.27:
	v_mbcnt_lo_u32_b32 v14, exec_lo, 0
	v_mbcnt_hi_u32_b32 v14, exec_hi, v14
	v_cmp_eq_u32_e32 vcc, 0, v14
                                        ; implicit-def: $vgpr14
	s_and_saveexec_b64 s[4:5], vcc
	s_xor_b64 s[4:5], exec, s[4:5]
	s_cbranch_execz .LBB4_29
; %bb.28:
	v_mov_b32_e32 v14, 0
	v_mov_b32_e32 v16, s22
	global_atomic_add v14, v14, v16, s[18:19] glc
.LBB4_29:
	s_or_b64 exec, exec, s[4:5]
	s_waitcnt vmcnt(0)
	v_readfirstlane_b32 s4, v14
	v_add_u32_e32 v14, s4, v15
	v_mov_b32_e32 v15, 0
	ds_write_b32 v15, v14 offset:1420
.LBB4_30:
	s_or_b64 exec, exec, s[20:21]
	v_sub_u32_e32 v7, v13, v7
	v_lshlrev_b32_e32 v2, 5, v2
	v_lshlrev_b32_e32 v13, 3, v1
	s_movk_i32 s4, 0x390
	v_add3_u32 v13, v2, v13, s4
	v_or_b32_e32 v7, v7, v11
	v_lshl_add_u32 v2, v0, 1, v13
	s_mov_b32 s22, 0
	v_cmp_ne_u32_e32 vcc, 0, v12
	ds_write_b16 v2, v7
	s_waitcnt lgkmcnt(0)
	s_barrier
	s_and_saveexec_b64 s[4:5], vcc
	s_cbranch_execz .LBB4_45
; %bb.31:
	v_mov_b32_e32 v14, 0
	ds_read_b32 v15, v14 offset:1292
	v_lshlrev_b32_e32 v2, 4, v6
	s_mov_b64 s[16:17], 0
	v_mov_b32_e32 v16, s1
	v_mov_b32_e32 v17, s3
	v_lshlrev_b32_e32 v0, 1, v0
	v_mov_b32_e32 v18, 5
	v_mov_b32_e32 v19, 3
	;; [unrolled: 1-line block ×4, first 2 shown]
	s_branch .LBB4_33
.LBB4_32:                               ;   in Loop: Header=BB4_33 Depth=1
	s_or_b64 exec, exec, s[18:19]
	s_add_i32 s22, s22, 1
	v_cmp_eq_u32_e32 vcc, s22, v12
	s_or_b64 s[16:17], vcc, s[16:17]
	s_andn2_b64 exec, exec, s[16:17]
	s_cbranch_execz .LBB4_45
.LBB4_33:                               ; =>This Loop Header: Depth=1
                                        ;     Child Loop BB4_34 Depth 2
                                        ;     Child Loop BB4_38 Depth 2
	;; [unrolled: 1-line block ×3, first 2 shown]
	v_mad_u64_u32 v[6:7], s[20:21], s22, 3, v[2:3]
	v_mov_b32_e32 v7, v14
	s_mov_b64 s[18:19], exec
	v_lshlrev_b64 v[6:7], 2, v[6:7]
	s_mov_b64 s[20:21], 0
	v_add_co_u32_e32 v6, vcc, s0, v6
	v_addc_co_u32_e32 v7, vcc, v16, v7, vcc
	global_load_dword v22, v[6:7], off
	s_waitcnt vmcnt(0)
	v_ashrrev_i32_e32 v23, 31, v22
	v_lshlrev_b64 v[22:23], 2, v[22:23]
	v_add_co_u32_e32 v22, vcc, s2, v22
	v_addc_co_u32_e32 v23, vcc, v17, v23, vcc
	global_load_dword v22, v[22:23], off
	s_waitcnt vmcnt(0)
	v_lshlrev_b32_sdwa v23, v18, v22 dst_sel:DWORD dst_unused:UNUSED_PAD src0_sel:DWORD src1_sel:BYTE_2
	v_lshlrev_b32_sdwa v24, v19, v22 dst_sel:DWORD dst_unused:UNUSED_PAD src0_sel:DWORD src1_sel:BYTE_1
	v_lshlrev_b32_sdwa v25, v20, v22 dst_sel:DWORD dst_unused:UNUSED_PAD src0_sel:DWORD src1_sel:BYTE_0
	v_add3_u32 v23, v13, v23, v24
	v_add3_u32 v23, v23, v0, v25
	ds_read_u16 v23, v23
	v_sub_u32_sdwa v22, v21, v22 dst_sel:DWORD dst_unused:UNUSED_PAD src0_sel:DWORD src1_sel:BYTE_3
	s_waitcnt lgkmcnt(0)
	v_lshrrev_b32_e32 v22, v22, v23
	v_and_b32_e32 v23, 0x1fff, v23
	v_bcnt_u32_b32 v22, v22, 0
	v_add3_u32 v22, v23, v15, v22
.LBB4_34:                               ;   Parent Loop BB4_33 Depth=1
                                        ; =>  This Inner Loop Header: Depth=2
	s_ff1_i32_b64 s1, s[18:19]
	v_readlane_b32 s26, v22, s1
	v_readlane_b32 s23, v14, s1
	s_add_u32 s20, s20, s26
	s_addc_u32 s21, s21, s23
	s_lshl_b64 s[26:27], 1, s1
	s_andn2_b64 s[18:19], s[18:19], s[26:27]
	s_cmp_lg_u64 s[18:19], 0
	s_cbranch_scc1 .LBB4_34
; %bb.35:                               ;   in Loop: Header=BB4_33 Depth=1
	v_mbcnt_lo_u32_b32 v22, exec_lo, 0
	v_mbcnt_hi_u32_b32 v22, exec_hi, v22
	v_cmp_eq_u32_e32 vcc, 0, v22
	s_and_saveexec_b64 s[18:19], vcc
	s_xor_b64 s[18:19], exec, s[18:19]
	s_cbranch_execz .LBB4_37
; %bb.36:                               ;   in Loop: Header=BB4_33 Depth=1
	v_mov_b32_e32 v23, s21
	v_mov_b32_e32 v22, s20
	global_atomic_add_x2 v14, v[22:23], s[8:9]
.LBB4_37:                               ;   in Loop: Header=BB4_33 Depth=1
	s_or_b64 exec, exec, s[18:19]
	global_load_dword v22, v[6:7], off offset:4
	s_mov_b64 s[18:19], exec
	s_mov_b64 s[20:21], 0
	s_waitcnt vmcnt(0)
	v_ashrrev_i32_e32 v23, 31, v22
	v_lshlrev_b64 v[22:23], 2, v[22:23]
	v_add_co_u32_e32 v22, vcc, s2, v22
	v_addc_co_u32_e32 v23, vcc, v17, v23, vcc
	global_load_dword v22, v[22:23], off
	s_waitcnt vmcnt(0)
	v_lshlrev_b32_sdwa v23, v18, v22 dst_sel:DWORD dst_unused:UNUSED_PAD src0_sel:DWORD src1_sel:BYTE_2
	v_lshlrev_b32_sdwa v24, v19, v22 dst_sel:DWORD dst_unused:UNUSED_PAD src0_sel:DWORD src1_sel:BYTE_1
	v_lshlrev_b32_sdwa v25, v20, v22 dst_sel:DWORD dst_unused:UNUSED_PAD src0_sel:DWORD src1_sel:BYTE_0
	v_add3_u32 v23, v13, v23, v24
	v_add3_u32 v23, v23, v0, v25
	ds_read_u16 v23, v23
	v_sub_u32_sdwa v22, v21, v22 dst_sel:DWORD dst_unused:UNUSED_PAD src0_sel:DWORD src1_sel:BYTE_3
	s_waitcnt lgkmcnt(0)
	v_lshrrev_b32_e32 v22, v22, v23
	v_and_b32_e32 v23, 0x1fff, v23
	v_bcnt_u32_b32 v22, v22, 0
	v_add3_u32 v22, v23, v15, v22
.LBB4_38:                               ;   Parent Loop BB4_33 Depth=1
                                        ; =>  This Inner Loop Header: Depth=2
	s_ff1_i32_b64 s1, s[18:19]
	v_readlane_b32 s26, v22, s1
	v_readlane_b32 s23, v14, s1
	s_add_u32 s20, s20, s26
	s_addc_u32 s21, s21, s23
	s_lshl_b64 s[26:27], 1, s1
	s_andn2_b64 s[18:19], s[18:19], s[26:27]
	s_cmp_lg_u64 s[18:19], 0
	s_cbranch_scc1 .LBB4_38
; %bb.39:                               ;   in Loop: Header=BB4_33 Depth=1
	v_mbcnt_lo_u32_b32 v22, exec_lo, 0
	v_mbcnt_hi_u32_b32 v22, exec_hi, v22
	v_cmp_eq_u32_e32 vcc, 0, v22
	s_and_saveexec_b64 s[18:19], vcc
	s_xor_b64 s[18:19], exec, s[18:19]
	s_cbranch_execz .LBB4_41
; %bb.40:                               ;   in Loop: Header=BB4_33 Depth=1
	v_mov_b32_e32 v23, s21
	v_mov_b32_e32 v22, s20
	global_atomic_add_x2 v14, v[22:23], s[8:9]
.LBB4_41:                               ;   in Loop: Header=BB4_33 Depth=1
	s_or_b64 exec, exec, s[18:19]
	global_load_dword v6, v[6:7], off offset:8
	v_mov_b32_e32 v22, s3
	s_mov_b64 s[18:19], exec
	s_mov_b64 s[20:21], 0
	s_waitcnt vmcnt(0)
	v_ashrrev_i32_e32 v7, 31, v6
	v_lshlrev_b64 v[6:7], 2, v[6:7]
	v_add_co_u32_e32 v6, vcc, s2, v6
	v_addc_co_u32_e32 v7, vcc, v22, v7, vcc
	global_load_dword v6, v[6:7], off
	s_waitcnt vmcnt(0)
	v_lshlrev_b32_sdwa v7, v18, v6 dst_sel:DWORD dst_unused:UNUSED_PAD src0_sel:DWORD src1_sel:BYTE_2
	v_lshlrev_b32_sdwa v22, v19, v6 dst_sel:DWORD dst_unused:UNUSED_PAD src0_sel:DWORD src1_sel:BYTE_1
	v_lshlrev_b32_sdwa v23, v20, v6 dst_sel:DWORD dst_unused:UNUSED_PAD src0_sel:DWORD src1_sel:BYTE_0
	v_add3_u32 v7, v13, v7, v22
	v_add3_u32 v7, v7, v0, v23
	ds_read_u16 v7, v7
	v_sub_u32_sdwa v6, v21, v6 dst_sel:DWORD dst_unused:UNUSED_PAD src0_sel:DWORD src1_sel:BYTE_3
	s_waitcnt lgkmcnt(0)
	v_lshrrev_b32_e32 v6, v6, v7
	v_and_b32_e32 v7, 0x1fff, v7
	v_bcnt_u32_b32 v6, v6, 0
	v_add3_u32 v6, v7, v15, v6
.LBB4_42:                               ;   Parent Loop BB4_33 Depth=1
                                        ; =>  This Inner Loop Header: Depth=2
	s_ff1_i32_b64 s1, s[18:19]
	v_readlane_b32 s23, v6, s1
	s_add_u32 s20, s20, s23
	s_addc_u32 s21, s21, 0
	s_lshl_b64 s[26:27], 1, s1
	s_andn2_b64 s[18:19], s[18:19], s[26:27]
	s_cmp_lg_u64 s[18:19], 0
	s_cbranch_scc1 .LBB4_42
; %bb.43:                               ;   in Loop: Header=BB4_33 Depth=1
	v_mbcnt_lo_u32_b32 v6, exec_lo, 0
	v_mbcnt_hi_u32_b32 v6, exec_hi, v6
	v_cmp_eq_u32_e32 vcc, 0, v6
	s_and_saveexec_b64 s[18:19], vcc
	s_xor_b64 s[18:19], exec, s[18:19]
	s_cbranch_execz .LBB4_32
; %bb.44:                               ;   in Loop: Header=BB4_33 Depth=1
	v_mov_b32_e32 v6, s20
	v_mov_b32_e32 v7, s21
	global_atomic_add_x2 v14, v[6:7], s[8:9]
	s_branch .LBB4_32
.LBB4_45:
	s_or_b64 exec, exec, s[4:5]
	s_mul_hi_u32 s0, s24, 0xc0c0c1
	s_mulk_i32 s0, 0x154
	s_sub_i32 s0, s24, s0
	v_mad_u64_u32 v[0:1], s[0:1], s0, 3, v[1:2]
	s_movk_i32 s0, 0x7fff
	v_cmp_lt_u32_e32 vcc, s0, v11
	v_mov_b32_e32 v1, 0
	v_sub_f32_e32 v12, s25, v8
	v_mov_b32_e32 v2, 0
	v_mov_b32_e32 v7, 0
	;; [unrolled: 1-line block ×3, first 2 shown]
	s_and_saveexec_b64 s[0:1], vcc
	s_cbranch_execz .LBB4_47
; %bb.46:
	ds_read_b32 v2, v9 offset:4
	v_cvt_f32_u32_e32 v6, v5
	v_add_u32_e32 v5, 1, v5
	v_cvt_f32_u32_e32 v5, v5
	s_waitcnt lgkmcnt(0)
	v_subrev_f32_e32 v7, s25, v2
	v_mul_f32_e32 v6, v7, v6
	v_sub_f32_e32 v2, v2, v8
	v_fmac_f32_e32 v6, v12, v5
	v_div_scale_f32 v5, s[2:3], v2, v2, v6
	v_div_scale_f32 v7, vcc, v6, v2, v6
	v_rcp_f32_e32 v13, v5
	v_fma_f32 v14, -v5, v13, 1.0
	v_fmac_f32_e32 v13, v14, v13
	v_mul_f32_e32 v14, v7, v13
	v_fma_f32 v15, -v5, v14, v7
	v_fmac_f32_e32 v14, v15, v13
	v_fma_f32 v5, -v5, v14, v7
	v_div_fmas_f32 v5, v5, v13, v14
	v_add_u32_e32 v7, 0xfffffe00, v0
	v_cvt_f32_i32_e32 v7, v7
	v_mul_f32_e32 v7, 0x3b000000, v7
	v_div_fixup_f32 v2, v5, v2, v6
	v_add_f32_e32 v2, 0xc4000000, v2
	v_mul_f32_e32 v2, 0x3b000000, v2
	v_mov_b32_e32 v6, v10
.LBB4_47:
	s_or_b64 exec, exec, s[0:1]
	v_and_b32_e32 v5, 0x4000, v11
	v_cmp_ne_u32_e32 vcc, 0, v5
	s_and_saveexec_b64 s[0:1], vcc
	s_cbranch_execz .LBB4_49
; %bb.48:
	ds_read_b32 v1, v9 offset:20
	v_cvt_f32_u32_e32 v5, v0
	v_add_u32_e32 v13, 1, v0
	v_cvt_f32_u32_e32 v13, v13
	v_add_f32_e32 v6, v10, v6
	s_waitcnt lgkmcnt(0)
	v_subrev_f32_e32 v14, s25, v1
	v_mul_f32_e32 v5, v14, v5
	v_sub_f32_e32 v1, v1, v8
	v_fmac_f32_e32 v5, v12, v13
	v_div_scale_f32 v13, s[2:3], v1, v1, v5
	v_div_scale_f32 v14, vcc, v5, v1, v5
	v_rcp_f32_e32 v15, v13
	v_fma_f32 v16, -v13, v15, 1.0
	v_fmac_f32_e32 v15, v16, v15
	v_mul_f32_e32 v16, v14, v15
	v_fma_f32 v17, -v13, v16, v14
	v_fmac_f32_e32 v16, v17, v15
	v_fma_f32 v13, -v13, v16, v14
	v_div_fmas_f32 v13, v13, v15, v16
	v_div_fixup_f32 v1, v13, v1, v5
	v_add_f32_e32 v1, 0xc4000000, v1
	v_fmac_f32_e32 v2, 0x3b000000, v1
	v_mov_b32_e32 v1, v4
.LBB4_49:
	s_or_b64 exec, exec, s[0:1]
	v_and_b32_e32 v5, 0x2000, v11
	v_cmp_ne_u32_e32 vcc, 0, v5
	s_and_saveexec_b64 s[0:1], vcc
	s_cbranch_execz .LBB4_51
; %bb.50:
	ds_read_b32 v5, v9 offset:100
	v_cvt_f32_u32_e32 v9, v3
	v_add_u32_e32 v3, 1, v3
	v_cvt_f32_u32_e32 v3, v3
	v_add_u32_e32 v0, 0xfffffe00, v0
	s_waitcnt lgkmcnt(0)
	v_subrev_f32_e32 v10, s25, v5
	v_sub_f32_e32 v5, v5, v8
	v_mul_f32_e32 v8, v10, v9
	v_fmac_f32_e32 v8, v12, v3
	v_div_scale_f32 v3, s[2:3], v5, v5, v8
	v_div_scale_f32 v9, vcc, v8, v5, v8
	v_cvt_f32_i32_e32 v0, v0
	v_add_f32_e32 v1, v4, v1
	v_fmac_f32_e32 v7, 0x3b000000, v0
	v_rcp_f32_e32 v10, v3
	v_fma_f32 v11, -v3, v10, 1.0
	v_fmac_f32_e32 v10, v11, v10
	v_mul_f32_e32 v11, v9, v10
	v_fma_f32 v12, -v3, v11, v9
	v_fmac_f32_e32 v11, v12, v10
	v_fma_f32 v3, -v3, v11, v9
	v_div_fmas_f32 v3, v3, v10, v11
	v_div_fixup_f32 v0, v3, v5, v8
	v_add_f32_e32 v0, 0xc4000000, v0
	v_fmac_f32_e32 v2, 0x3b000000, v0
.LBB4_51:
	s_or_b64 exec, exec, s[0:1]
	s_mov_b64 s[0:1], exec
	v_bfrev_b32_e32 v3, 1
.LBB4_52:                               ; =>This Inner Loop Header: Depth=1
	s_ff1_i32_b64 s2, s[0:1]
	v_readlane_b32 s4, v1, s2
	s_lshl_b64 s[2:3], 1, s2
	s_andn2_b64 s[0:1], s[0:1], s[2:3]
	s_cmp_lg_u64 s[0:1], 0
	v_add_f32_e32 v3, s4, v3
	s_cbranch_scc1 .LBB4_52
; %bb.53:
	v_mbcnt_lo_u32_b32 v0, exec_lo, 0
	v_mbcnt_hi_u32_b32 v0, exec_hi, v0
	v_cmp_eq_u32_e32 vcc, 0, v0
	s_and_saveexec_b64 s[0:1], vcc
	s_xor_b64 s[0:1], exec, s[0:1]
	s_cbranch_execz .LBB4_57
; %bb.54:
	s_load_dword s4, s[10:11], 0x0
	s_mov_b64 s[2:3], 0
	v_mov_b32_e32 v4, 0
	s_waitcnt lgkmcnt(0)
	v_mov_b32_e32 v1, s4
.LBB4_55:                               ; =>This Inner Loop Header: Depth=1
	v_add_f32_e32 v0, v1, v3
	global_atomic_cmpswap v0, v4, v[0:1], s[10:11] glc
	s_waitcnt vmcnt(0)
	v_cmp_eq_u32_e32 vcc, v0, v1
	s_or_b64 s[2:3], vcc, s[2:3]
	v_mov_b32_e32 v1, v0
	s_andn2_b64 exec, exec, s[2:3]
	s_cbranch_execnz .LBB4_55
; %bb.56:
	s_or_b64 exec, exec, s[2:3]
.LBB4_57:
	s_or_b64 exec, exec, s[0:1]
	s_mov_b64 s[0:1], exec
	v_bfrev_b32_e32 v3, 1
.LBB4_58:                               ; =>This Inner Loop Header: Depth=1
	s_ff1_i32_b64 s2, s[0:1]
	v_readlane_b32 s4, v7, s2
	s_lshl_b64 s[2:3], 1, s2
	s_andn2_b64 s[0:1], s[0:1], s[2:3]
	s_cmp_lg_u64 s[0:1], 0
	v_add_f32_e32 v3, s4, v3
	s_cbranch_scc1 .LBB4_58
; %bb.59:
	v_mbcnt_lo_u32_b32 v0, exec_lo, 0
	v_mbcnt_hi_u32_b32 v0, exec_hi, v0
	v_cmp_eq_u32_e32 vcc, 0, v0
	s_and_saveexec_b64 s[0:1], vcc
	s_xor_b64 s[0:1], exec, s[0:1]
	s_cbranch_execz .LBB4_63
; %bb.60:
	s_load_dword s4, s[12:13], 0x0
	s_mov_b64 s[2:3], 0
	v_mov_b32_e32 v4, 0
	s_waitcnt lgkmcnt(0)
	v_mov_b32_e32 v1, s4
.LBB4_61:                               ; =>This Inner Loop Header: Depth=1
	v_add_f32_e32 v0, v1, v3
	global_atomic_cmpswap v0, v4, v[0:1], s[12:13] glc
	s_waitcnt vmcnt(0)
	v_cmp_eq_u32_e32 vcc, v0, v1
	s_or_b64 s[2:3], vcc, s[2:3]
	v_mov_b32_e32 v1, v0
	s_andn2_b64 exec, exec, s[2:3]
	s_cbranch_execnz .LBB4_61
; %bb.62:
	s_or_b64 exec, exec, s[2:3]
.LBB4_63:
	;; [unrolled: 36-line block ×3, first 2 shown]
	s_or_b64 exec, exec, s[0:1]
	s_mov_b64 s[0:1], exec
	v_bfrev_b32_e32 v3, 1
.LBB4_70:                               ; =>This Inner Loop Header: Depth=1
	s_ff1_i32_b64 s2, s[0:1]
	v_readlane_b32 s4, v2, s2
	s_lshl_b64 s[2:3], 1, s2
	s_andn2_b64 s[0:1], s[0:1], s[2:3]
	s_cmp_lg_u64 s[0:1], 0
	v_add_f32_e32 v3, s4, v3
	s_cbranch_scc1 .LBB4_70
; %bb.71:
	v_mbcnt_lo_u32_b32 v0, exec_lo, 0
	v_mbcnt_hi_u32_b32 v0, exec_hi, v0
	v_cmp_eq_u32_e32 vcc, 0, v0
	s_and_saveexec_b64 s[0:1], vcc
	s_xor_b64 s[0:1], exec, s[0:1]
	s_cbranch_execz .LBB4_74
; %bb.72:
	s_load_dword s2, s[6:7], 0x0
	s_mov_b64 s[0:1], 0
	v_mov_b32_e32 v2, 0
	s_waitcnt lgkmcnt(0)
	v_mov_b32_e32 v1, s2
.LBB4_73:                               ; =>This Inner Loop Header: Depth=1
	v_add_f32_e32 v0, v1, v3
	global_atomic_cmpswap v0, v2, v[0:1], s[6:7] glc
	s_waitcnt vmcnt(0)
	v_cmp_eq_u32_e32 vcc, v0, v1
	s_or_b64 s[0:1], vcc, s[0:1]
	v_mov_b32_e32 v1, v0
	s_andn2_b64 exec, exec, s[0:1]
	s_cbranch_execnz .LBB4_73
.LBB4_74:
	s_endpgm
	.section	.rodata,"a",@progbits
	.p2align	6, 0x0
	.amdhsa_kernel _Z19generatingTrianglesfPKjPKtPKiPK15HIP_vector_typeIhLj4EEPjS9_PyPfSB_SB_SB_
		.amdhsa_group_segment_fixed_size 1424
		.amdhsa_private_segment_fixed_size 0
		.amdhsa_kernarg_size 96
		.amdhsa_user_sgpr_count 6
		.amdhsa_user_sgpr_private_segment_buffer 1
		.amdhsa_user_sgpr_dispatch_ptr 0
		.amdhsa_user_sgpr_queue_ptr 0
		.amdhsa_user_sgpr_kernarg_segment_ptr 1
		.amdhsa_user_sgpr_dispatch_id 0
		.amdhsa_user_sgpr_flat_scratch_init 0
		.amdhsa_user_sgpr_private_segment_size 0
		.amdhsa_uses_dynamic_stack 0
		.amdhsa_system_sgpr_private_segment_wavefront_offset 0
		.amdhsa_system_sgpr_workgroup_id_x 1
		.amdhsa_system_sgpr_workgroup_id_y 0
		.amdhsa_system_sgpr_workgroup_id_z 0
		.amdhsa_system_sgpr_workgroup_info 0
		.amdhsa_system_vgpr_workitem_id 2
		.amdhsa_next_free_vgpr 26
		.amdhsa_next_free_sgpr 28
		.amdhsa_reserve_vcc 1
		.amdhsa_reserve_flat_scratch 0
		.amdhsa_float_round_mode_32 0
		.amdhsa_float_round_mode_16_64 0
		.amdhsa_float_denorm_mode_32 3
		.amdhsa_float_denorm_mode_16_64 3
		.amdhsa_dx10_clamp 1
		.amdhsa_ieee_mode 1
		.amdhsa_fp16_overflow 0
		.amdhsa_exception_fp_ieee_invalid_op 0
		.amdhsa_exception_fp_denorm_src 0
		.amdhsa_exception_fp_ieee_div_zero 0
		.amdhsa_exception_fp_ieee_overflow 0
		.amdhsa_exception_fp_ieee_underflow 0
		.amdhsa_exception_fp_ieee_inexact 0
		.amdhsa_exception_int_div_zero 0
	.end_amdhsa_kernel
	.text
.Lfunc_end4:
	.size	_Z19generatingTrianglesfPKjPKtPKiPK15HIP_vector_typeIhLj4EEPjS9_PyPfSB_SB_SB_, .Lfunc_end4-_Z19generatingTrianglesfPKjPKtPKiPK15HIP_vector_typeIhLj4EEPjS9_PyPfSB_SB_SB_
                                        ; -- End function
	.set _Z19generatingTrianglesfPKjPKtPKiPK15HIP_vector_typeIhLj4EEPjS9_PyPfSB_SB_SB_.num_vgpr, 26
	.set _Z19generatingTrianglesfPKjPKtPKiPK15HIP_vector_typeIhLj4EEPjS9_PyPfSB_SB_SB_.num_agpr, 0
	.set _Z19generatingTrianglesfPKjPKtPKiPK15HIP_vector_typeIhLj4EEPjS9_PyPfSB_SB_SB_.numbered_sgpr, 28
	.set _Z19generatingTrianglesfPKjPKtPKiPK15HIP_vector_typeIhLj4EEPjS9_PyPfSB_SB_SB_.num_named_barrier, 0
	.set _Z19generatingTrianglesfPKjPKtPKiPK15HIP_vector_typeIhLj4EEPjS9_PyPfSB_SB_SB_.private_seg_size, 0
	.set _Z19generatingTrianglesfPKjPKtPKiPK15HIP_vector_typeIhLj4EEPjS9_PyPfSB_SB_SB_.uses_vcc, 1
	.set _Z19generatingTrianglesfPKjPKtPKiPK15HIP_vector_typeIhLj4EEPjS9_PyPfSB_SB_SB_.uses_flat_scratch, 0
	.set _Z19generatingTrianglesfPKjPKtPKiPK15HIP_vector_typeIhLj4EEPjS9_PyPfSB_SB_SB_.has_dyn_sized_stack, 0
	.set _Z19generatingTrianglesfPKjPKtPKiPK15HIP_vector_typeIhLj4EEPjS9_PyPfSB_SB_SB_.has_recursion, 0
	.set _Z19generatingTrianglesfPKjPKtPKiPK15HIP_vector_typeIhLj4EEPjS9_PyPfSB_SB_SB_.has_indirect_call, 0
	.section	.AMDGPU.csdata,"",@progbits
; Kernel info:
; codeLenInByte = 3896
; TotalNumSgprs: 32
; NumVgprs: 26
; ScratchSize: 0
; MemoryBound: 0
; FloatMode: 240
; IeeeMode: 1
; LDSByteSize: 1424 bytes/workgroup (compile time only)
; SGPRBlocks: 3
; VGPRBlocks: 6
; NumSGPRsForWavesPerEU: 32
; NumVGPRsForWavesPerEU: 26
; Occupancy: 9
; WaveLimiterHint : 1
; COMPUTE_PGM_RSRC2:SCRATCH_EN: 0
; COMPUTE_PGM_RSRC2:USER_SGPR: 6
; COMPUTE_PGM_RSRC2:TRAP_HANDLER: 0
; COMPUTE_PGM_RSRC2:TGID_X_EN: 1
; COMPUTE_PGM_RSRC2:TGID_Y_EN: 0
; COMPUTE_PGM_RSRC2:TGID_Z_EN: 0
; COMPUTE_PGM_RSRC2:TIDIG_COMP_CNT: 2
	.section	.AMDGPU.gpr_maximums,"",@progbits
	.set amdgpu.max_num_vgpr, 0
	.set amdgpu.max_num_agpr, 0
	.set amdgpu.max_num_sgpr, 0
	.section	.AMDGPU.csdata,"",@progbits
	.type	__hip_cuid_9c17a6c9ca509cb9,@object ; @__hip_cuid_9c17a6c9ca509cb9
	.section	.bss,"aw",@nobits
	.globl	__hip_cuid_9c17a6c9ca509cb9
__hip_cuid_9c17a6c9ca509cb9:
	.byte	0                               ; 0x0
	.size	__hip_cuid_9c17a6c9ca509cb9, 1

	.ident	"AMD clang version 22.0.0git (https://github.com/RadeonOpenCompute/llvm-project roc-7.2.4 26084 f58b06dce1f9c15707c5f808fd002e18c2accf7e)"
	.section	".note.GNU-stack","",@progbits
	.addrsig
	.addrsig_sym __hip_cuid_9c17a6c9ca509cb9
	.amdgpu_metadata
---
amdhsa.kernels:
  - .args:
      - .actual_access:  write_only
        .address_space:  global
        .offset:         0
        .size:           8
        .value_kind:     global_buffer
    .group_segment_fixed_size: 256
    .kernarg_segment_align: 8
    .kernarg_segment_size: 8
    .language:       OpenCL C
    .language_version:
      - 2
      - 0
    .max_flat_workgroup_size: 1024
    .name:           _Z16computeMinMaxLv1Pf
    .private_segment_fixed_size: 0
    .sgpr_count:     13
    .sgpr_spill_count: 0
    .symbol:         _Z16computeMinMaxLv1Pf.kd
    .uniform_work_group_size: 1
    .uses_dynamic_stack: false
    .vgpr_count:     11
    .vgpr_spill_count: 0
    .wavefront_size: 64
  - .args:
      - .offset:         0
        .size:           4
        .value_kind:     by_value
      - .actual_access:  read_only
        .address_space:  global
        .offset:         8
        .size:           8
        .value_kind:     global_buffer
      - .actual_access:  write_only
        .address_space:  global
        .offset:         16
        .size:           8
        .value_kind:     global_buffer
      - .address_space:  global
        .offset:         24
        .size:           8
        .value_kind:     global_buffer
    .group_segment_fixed_size: 128
    .kernarg_segment_align: 8
    .kernarg_segment_size: 32
    .language:       OpenCL C
    .language_version:
      - 2
      - 0
    .max_flat_workgroup_size: 1024
    .name:           _Z10compactLv1fPKfPjS1_
    .private_segment_fixed_size: 0
    .sgpr_count:     19
    .sgpr_spill_count: 0
    .symbol:         _Z10compactLv1fPKfPjS1_.kd
    .uniform_work_group_size: 1
    .uses_dynamic_stack: false
    .vgpr_count:     9
    .vgpr_spill_count: 0
    .wavefront_size: 64
  - .args:
      - .actual_access:  read_only
        .address_space:  global
        .offset:         0
        .size:           8
        .value_kind:     global_buffer
      - .actual_access:  write_only
        .address_space:  global
        .offset:         8
        .size:           8
        .value_kind:     global_buffer
    .group_segment_fixed_size: 0
    .kernarg_segment_align: 8
    .kernarg_segment_size: 16
    .language:       OpenCL C
    .language_version:
      - 2
      - 0
    .max_flat_workgroup_size: 1024
    .name:           _Z16computeMinMaxLv2PKjPf
    .private_segment_fixed_size: 0
    .sgpr_count:     13
    .sgpr_spill_count: 0
    .symbol:         _Z16computeMinMaxLv2PKjPf.kd
    .uniform_work_group_size: 1
    .uses_dynamic_stack: false
    .vgpr_count:     16
    .vgpr_spill_count: 0
    .wavefront_size: 64
  - .args:
      - .offset:         0
        .size:           4
        .value_kind:     by_value
      - .actual_access:  read_only
        .address_space:  global
        .offset:         8
        .size:           8
        .value_kind:     global_buffer
      - .actual_access:  read_only
        .address_space:  global
        .offset:         16
        .size:           8
        .value_kind:     global_buffer
      - .actual_access:  write_only
        .address_space:  global
        .offset:         24
        .size:           8
        .value_kind:     global_buffer
      - .offset:         32
        .size:           4
        .value_kind:     by_value
      - .address_space:  global
        .offset:         40
        .size:           8
        .value_kind:     global_buffer
    .group_segment_fixed_size: 128
    .kernarg_segment_align: 8
    .kernarg_segment_size: 48
    .language:       OpenCL C
    .language_version:
      - 2
      - 0
    .max_flat_workgroup_size: 1024
    .name:           _Z10compactLv2fPKfPKjPjjS3_
    .private_segment_fixed_size: 0
    .sgpr_count:     22
    .sgpr_spill_count: 0
    .symbol:         _Z10compactLv2fPKfPKjPjjS3_.kd
    .uniform_work_group_size: 1
    .uses_dynamic_stack: false
    .vgpr_count:     12
    .vgpr_spill_count: 0
    .wavefront_size: 64
  - .args:
      - .offset:         0
        .size:           4
        .value_kind:     by_value
      - .actual_access:  read_only
        .address_space:  global
        .offset:         8
        .size:           8
        .value_kind:     global_buffer
      - .actual_access:  read_only
        .address_space:  global
        .offset:         16
        .size:           8
        .value_kind:     global_buffer
      - .actual_access:  read_only
        .address_space:  global
        .offset:         24
        .size:           8
        .value_kind:     global_buffer
      - .actual_access:  read_only
        .address_space:  global
        .offset:         32
        .size:           8
        .value_kind:     global_buffer
      - .address_space:  global
        .offset:         40
        .size:           8
        .value_kind:     global_buffer
      - .address_space:  global
        .offset:         48
        .size:           8
        .value_kind:     global_buffer
      - .address_space:  global
        .offset:         56
        .size:           8
        .value_kind:     global_buffer
      - .address_space:  global
        .offset:         64
        .size:           8
        .value_kind:     global_buffer
      - .address_space:  global
        .offset:         72
        .size:           8
        .value_kind:     global_buffer
      - .address_space:  global
        .offset:         80
        .size:           8
        .value_kind:     global_buffer
      - .address_space:  global
        .offset:         88
        .size:           8
        .value_kind:     global_buffer
    .group_segment_fixed_size: 1424
    .kernarg_segment_align: 8
    .kernarg_segment_size: 96
    .language:       OpenCL C
    .language_version:
      - 2
      - 0
    .max_flat_workgroup_size: 1024
    .name:           _Z19generatingTrianglesfPKjPKtPKiPK15HIP_vector_typeIhLj4EEPjS9_PyPfSB_SB_SB_
    .private_segment_fixed_size: 0
    .sgpr_count:     32
    .sgpr_spill_count: 0
    .symbol:         _Z19generatingTrianglesfPKjPKtPKiPK15HIP_vector_typeIhLj4EEPjS9_PyPfSB_SB_SB_.kd
    .uniform_work_group_size: 1
    .uses_dynamic_stack: false
    .vgpr_count:     26
    .vgpr_spill_count: 0
    .wavefront_size: 64
amdhsa.target:   amdgcn-amd-amdhsa--gfx906
amdhsa.version:
  - 1
  - 2
...

	.end_amdgpu_metadata
